;; amdgpu-corpus repo=ROCm/rocFFT kind=compiled arch=gfx906 opt=O3
	.text
	.amdgcn_target "amdgcn-amd-amdhsa--gfx906"
	.amdhsa_code_object_version 6
	.protected	fft_rtc_back_len918_factors_17_9_2_3_wgs_102_tpt_102_halfLds_half_op_CI_CI_unitstride_sbrr_R2C_dirReg ; -- Begin function fft_rtc_back_len918_factors_17_9_2_3_wgs_102_tpt_102_halfLds_half_op_CI_CI_unitstride_sbrr_R2C_dirReg
	.globl	fft_rtc_back_len918_factors_17_9_2_3_wgs_102_tpt_102_halfLds_half_op_CI_CI_unitstride_sbrr_R2C_dirReg
	.p2align	8
	.type	fft_rtc_back_len918_factors_17_9_2_3_wgs_102_tpt_102_halfLds_half_op_CI_CI_unitstride_sbrr_R2C_dirReg,@function
fft_rtc_back_len918_factors_17_9_2_3_wgs_102_tpt_102_halfLds_half_op_CI_CI_unitstride_sbrr_R2C_dirReg: ; @fft_rtc_back_len918_factors_17_9_2_3_wgs_102_tpt_102_halfLds_half_op_CI_CI_unitstride_sbrr_R2C_dirReg
; %bb.0:
	s_load_dwordx4 s[8:11], s[4:5], 0x58
	s_load_dwordx4 s[12:15], s[4:5], 0x0
	;; [unrolled: 1-line block ×3, first 2 shown]
	v_mul_u32_u24_e32 v1, 0x283, v0
	v_mov_b32_e32 v8, 0
	v_mov_b32_e32 v6, 0
	s_waitcnt lgkmcnt(0)
	v_cmp_lt_u64_e64 s[0:1], s[14:15], 2
	v_add_u32_sdwa v10, s6, v1 dst_sel:DWORD dst_unused:UNUSED_PAD src0_sel:DWORD src1_sel:WORD_1
	v_mov_b32_e32 v11, v8
	s_and_b64 vcc, exec, s[0:1]
	v_mov_b32_e32 v7, 0
	s_cbranch_vccnz .LBB0_8
; %bb.1:
	s_load_dwordx2 s[0:1], s[4:5], 0x10
	s_add_u32 s2, s18, 8
	s_addc_u32 s3, s19, 0
	s_add_u32 s6, s16, 8
	s_addc_u32 s7, s17, 0
	v_mov_b32_e32 v6, 0
	s_waitcnt lgkmcnt(0)
	s_add_u32 s20, s0, 8
	v_mov_b32_e32 v7, 0
	v_mov_b32_e32 v1, v6
	s_addc_u32 s21, s1, 0
	s_mov_b64 s[22:23], 1
	v_mov_b32_e32 v2, v7
.LBB0_2:                                ; =>This Inner Loop Header: Depth=1
	s_load_dwordx2 s[24:25], s[20:21], 0x0
                                        ; implicit-def: $vgpr3_vgpr4
	s_waitcnt lgkmcnt(0)
	v_or_b32_e32 v9, s25, v11
	v_cmp_ne_u64_e32 vcc, 0, v[8:9]
	s_and_saveexec_b64 s[0:1], vcc
	s_xor_b64 s[26:27], exec, s[0:1]
	s_cbranch_execz .LBB0_4
; %bb.3:                                ;   in Loop: Header=BB0_2 Depth=1
	v_cvt_f32_u32_e32 v3, s24
	v_cvt_f32_u32_e32 v4, s25
	s_sub_u32 s0, 0, s24
	s_subb_u32 s1, 0, s25
	v_mac_f32_e32 v3, 0x4f800000, v4
	v_rcp_f32_e32 v3, v3
	v_mul_f32_e32 v3, 0x5f7ffffc, v3
	v_mul_f32_e32 v4, 0x2f800000, v3
	v_trunc_f32_e32 v4, v4
	v_mac_f32_e32 v3, 0xcf800000, v4
	v_cvt_u32_f32_e32 v4, v4
	v_cvt_u32_f32_e32 v3, v3
	v_mul_lo_u32 v5, s0, v4
	v_mul_hi_u32 v9, s0, v3
	v_mul_lo_u32 v13, s1, v3
	v_mul_lo_u32 v12, s0, v3
	v_add_u32_e32 v5, v9, v5
	v_add_u32_e32 v5, v5, v13
	v_mul_hi_u32 v9, v3, v12
	v_mul_lo_u32 v13, v3, v5
	v_mul_hi_u32 v15, v3, v5
	v_mul_hi_u32 v14, v4, v12
	v_mul_lo_u32 v12, v4, v12
	v_mul_hi_u32 v16, v4, v5
	v_add_co_u32_e32 v9, vcc, v9, v13
	v_addc_co_u32_e32 v13, vcc, 0, v15, vcc
	v_mul_lo_u32 v5, v4, v5
	v_add_co_u32_e32 v9, vcc, v9, v12
	v_addc_co_u32_e32 v9, vcc, v13, v14, vcc
	v_addc_co_u32_e32 v12, vcc, 0, v16, vcc
	v_add_co_u32_e32 v5, vcc, v9, v5
	v_addc_co_u32_e32 v9, vcc, 0, v12, vcc
	v_add_co_u32_e32 v3, vcc, v3, v5
	v_addc_co_u32_e32 v4, vcc, v4, v9, vcc
	v_mul_lo_u32 v5, s0, v4
	v_mul_hi_u32 v9, s0, v3
	v_mul_lo_u32 v12, s1, v3
	v_mul_lo_u32 v13, s0, v3
	v_add_u32_e32 v5, v9, v5
	v_add_u32_e32 v5, v5, v12
	v_mul_lo_u32 v14, v3, v5
	v_mul_hi_u32 v15, v3, v13
	v_mul_hi_u32 v16, v3, v5
	v_mul_hi_u32 v12, v4, v13
	v_mul_lo_u32 v13, v4, v13
	v_mul_hi_u32 v9, v4, v5
	v_add_co_u32_e32 v14, vcc, v15, v14
	v_addc_co_u32_e32 v15, vcc, 0, v16, vcc
	v_mul_lo_u32 v5, v4, v5
	v_add_co_u32_e32 v13, vcc, v14, v13
	v_addc_co_u32_e32 v12, vcc, v15, v12, vcc
	v_addc_co_u32_e32 v9, vcc, 0, v9, vcc
	v_add_co_u32_e32 v5, vcc, v12, v5
	v_addc_co_u32_e32 v9, vcc, 0, v9, vcc
	v_add_co_u32_e32 v5, vcc, v3, v5
	v_addc_co_u32_e32 v9, vcc, v4, v9, vcc
	v_mad_u64_u32 v[3:4], s[0:1], v10, v9, 0
	v_mul_hi_u32 v12, v10, v5
	v_add_co_u32_e32 v14, vcc, v12, v3
	v_addc_co_u32_e32 v15, vcc, 0, v4, vcc
	v_mad_u64_u32 v[3:4], s[0:1], v11, v5, 0
	v_mad_u64_u32 v[12:13], s[0:1], v11, v9, 0
	v_add_co_u32_e32 v3, vcc, v14, v3
	v_addc_co_u32_e32 v3, vcc, v15, v4, vcc
	v_addc_co_u32_e32 v4, vcc, 0, v13, vcc
	v_add_co_u32_e32 v5, vcc, v3, v12
	v_addc_co_u32_e32 v9, vcc, 0, v4, vcc
	v_mul_lo_u32 v12, s25, v5
	v_mul_lo_u32 v13, s24, v9
	v_mad_u64_u32 v[3:4], s[0:1], s24, v5, 0
	v_add3_u32 v4, v4, v13, v12
	v_sub_u32_e32 v12, v11, v4
	v_mov_b32_e32 v13, s25
	v_sub_co_u32_e32 v3, vcc, v10, v3
	v_subb_co_u32_e64 v12, s[0:1], v12, v13, vcc
	v_subrev_co_u32_e64 v13, s[0:1], s24, v3
	v_subbrev_co_u32_e64 v12, s[0:1], 0, v12, s[0:1]
	v_cmp_le_u32_e64 s[0:1], s25, v12
	v_cndmask_b32_e64 v14, 0, -1, s[0:1]
	v_cmp_le_u32_e64 s[0:1], s24, v13
	v_cndmask_b32_e64 v13, 0, -1, s[0:1]
	v_cmp_eq_u32_e64 s[0:1], s25, v12
	v_cndmask_b32_e64 v12, v14, v13, s[0:1]
	v_add_co_u32_e64 v13, s[0:1], 2, v5
	v_addc_co_u32_e64 v14, s[0:1], 0, v9, s[0:1]
	v_add_co_u32_e64 v15, s[0:1], 1, v5
	v_addc_co_u32_e64 v16, s[0:1], 0, v9, s[0:1]
	v_subb_co_u32_e32 v4, vcc, v11, v4, vcc
	v_cmp_ne_u32_e64 s[0:1], 0, v12
	v_cmp_le_u32_e32 vcc, s25, v4
	v_cndmask_b32_e64 v12, v16, v14, s[0:1]
	v_cndmask_b32_e64 v14, 0, -1, vcc
	v_cmp_le_u32_e32 vcc, s24, v3
	v_cndmask_b32_e64 v3, 0, -1, vcc
	v_cmp_eq_u32_e32 vcc, s25, v4
	v_cndmask_b32_e32 v3, v14, v3, vcc
	v_cmp_ne_u32_e32 vcc, 0, v3
	v_cndmask_b32_e64 v3, v15, v13, s[0:1]
	v_cndmask_b32_e32 v4, v9, v12, vcc
	v_cndmask_b32_e32 v3, v5, v3, vcc
.LBB0_4:                                ;   in Loop: Header=BB0_2 Depth=1
	s_andn2_saveexec_b64 s[0:1], s[26:27]
	s_cbranch_execz .LBB0_6
; %bb.5:                                ;   in Loop: Header=BB0_2 Depth=1
	v_cvt_f32_u32_e32 v3, s24
	s_sub_i32 s26, 0, s24
	v_rcp_iflag_f32_e32 v3, v3
	v_mul_f32_e32 v3, 0x4f7ffffe, v3
	v_cvt_u32_f32_e32 v3, v3
	v_mul_lo_u32 v4, s26, v3
	v_mul_hi_u32 v4, v3, v4
	v_add_u32_e32 v3, v3, v4
	v_mul_hi_u32 v3, v10, v3
	v_mul_lo_u32 v4, v3, s24
	v_add_u32_e32 v5, 1, v3
	v_sub_u32_e32 v4, v10, v4
	v_subrev_u32_e32 v9, s24, v4
	v_cmp_le_u32_e32 vcc, s24, v4
	v_cndmask_b32_e32 v4, v4, v9, vcc
	v_cndmask_b32_e32 v3, v3, v5, vcc
	v_add_u32_e32 v5, 1, v3
	v_cmp_le_u32_e32 vcc, s24, v4
	v_cndmask_b32_e32 v3, v3, v5, vcc
	v_mov_b32_e32 v4, v8
.LBB0_6:                                ;   in Loop: Header=BB0_2 Depth=1
	s_or_b64 exec, exec, s[0:1]
	v_mul_lo_u32 v5, v4, s24
	v_mul_lo_u32 v9, v3, s25
	v_mad_u64_u32 v[12:13], s[0:1], v3, s24, 0
	s_load_dwordx2 s[0:1], s[6:7], 0x0
	s_load_dwordx2 s[24:25], s[2:3], 0x0
	v_add3_u32 v5, v13, v9, v5
	v_sub_co_u32_e32 v9, vcc, v10, v12
	v_subb_co_u32_e32 v5, vcc, v11, v5, vcc
	s_waitcnt lgkmcnt(0)
	v_mul_lo_u32 v10, s0, v5
	v_mul_lo_u32 v11, s1, v9
	v_mad_u64_u32 v[6:7], s[0:1], s0, v9, v[6:7]
	s_add_u32 s22, s22, 1
	s_addc_u32 s23, s23, 0
	s_add_u32 s2, s2, 8
	v_mul_lo_u32 v5, s24, v5
	v_mul_lo_u32 v12, s25, v9
	v_mad_u64_u32 v[1:2], s[0:1], s24, v9, v[1:2]
	v_add3_u32 v7, v11, v7, v10
	s_addc_u32 s3, s3, 0
	v_mov_b32_e32 v9, s14
	s_add_u32 s6, s6, 8
	v_mov_b32_e32 v10, s15
	s_addc_u32 s7, s7, 0
	v_cmp_ge_u64_e32 vcc, s[22:23], v[9:10]
	s_add_u32 s20, s20, 8
	v_add3_u32 v2, v12, v2, v5
	s_addc_u32 s21, s21, 0
	s_cbranch_vccnz .LBB0_9
; %bb.7:                                ;   in Loop: Header=BB0_2 Depth=1
	v_mov_b32_e32 v11, v4
	v_mov_b32_e32 v10, v3
	s_branch .LBB0_2
.LBB0_8:
	v_mov_b32_e32 v1, v6
	v_mov_b32_e32 v3, v10
	;; [unrolled: 1-line block ×4, first 2 shown]
.LBB0_9:
	s_load_dwordx2 s[0:1], s[4:5], 0x28
	s_lshl_b64 s[6:7], s[14:15], 3
	s_add_u32 s2, s18, s6
	s_addc_u32 s3, s19, s7
                                        ; implicit-def: $vgpr5
	s_waitcnt lgkmcnt(0)
	v_cmp_gt_u64_e32 vcc, s[0:1], v[3:4]
	v_cmp_le_u64_e64 s[0:1], s[0:1], v[3:4]
	s_and_saveexec_b64 s[4:5], s[0:1]
	s_xor_b64 s[0:1], exec, s[4:5]
; %bb.10:
	s_mov_b32 s4, 0x2828283
	v_mul_hi_u32 v5, v0, s4
                                        ; implicit-def: $vgpr6_vgpr7
	v_mul_u32_u24_e32 v5, 0x66, v5
	v_sub_u32_e32 v5, v0, v5
                                        ; implicit-def: $vgpr0
; %bb.11:
	s_andn2_saveexec_b64 s[4:5], s[0:1]
	s_cbranch_execz .LBB0_13
; %bb.12:
	s_add_u32 s0, s16, s6
	s_addc_u32 s1, s17, s7
	s_load_dwordx2 s[0:1], s[0:1], 0x0
	s_mov_b32 s6, 0x2828283
	v_mul_hi_u32 v5, v0, s6
	v_lshlrev_b64 v[6:7], 2, v[6:7]
	s_waitcnt lgkmcnt(0)
	v_mul_lo_u32 v10, s1, v3
	v_mul_lo_u32 v11, s0, v4
	v_mad_u64_u32 v[8:9], s[0:1], s0, v3, 0
	v_mul_u32_u24_e32 v5, 0x66, v5
	v_sub_u32_e32 v5, v0, v5
	v_add3_u32 v9, v9, v11, v10
	v_lshlrev_b64 v[8:9], 2, v[8:9]
	v_mov_b32_e32 v0, s9
	v_add_co_u32_e64 v8, s[0:1], s8, v8
	v_addc_co_u32_e64 v0, s[0:1], v0, v9, s[0:1]
	v_add_co_u32_e64 v6, s[0:1], v8, v6
	v_addc_co_u32_e64 v0, s[0:1], v0, v7, s[0:1]
	v_lshlrev_b32_e32 v8, 2, v5
	v_add_co_u32_e64 v6, s[0:1], v6, v8
	v_addc_co_u32_e64 v7, s[0:1], 0, v0, s[0:1]
	global_load_dword v0, v[6:7], off
	global_load_dword v9, v[6:7], off offset:408
	global_load_dword v10, v[6:7], off offset:816
	;; [unrolled: 1-line block ×8, first 2 shown]
	v_add_u32_e32 v6, 0, v8
	v_add_u32_e32 v7, 0x200, v6
	;; [unrolled: 1-line block ×4, first 2 shown]
	s_waitcnt vmcnt(7)
	ds_write2_b32 v6, v0, v9 offset1:102
	s_waitcnt vmcnt(5)
	ds_write2_b32 v7, v10, v11 offset0:76 offset1:178
	s_waitcnt vmcnt(3)
	ds_write2_b32 v8, v12, v13 offset0:152 offset1:254
	;; [unrolled: 2-line block ×3, first 2 shown]
	s_waitcnt vmcnt(0)
	ds_write_b32 v6, v16 offset:3264
.LBB0_13:
	s_or_b64 exec, exec, s[4:5]
	v_lshl_add_u32 v0, v5, 2, 0
	s_waitcnt lgkmcnt(0)
	s_barrier
	ds_read2_b32 v[6:7], v0 offset1:54
	v_add_u32_e32 v24, 0x800, v0
	v_add_u32_e32 v8, 0xa00, v0
	ds_read2_b32 v[10:11], v24 offset0:136 offset1:190
	ds_read_b32 v28, v0 offset:3456
	ds_read2_b32 v[8:9], v8 offset0:116 offset1:170
	ds_read2_b32 v[20:21], v0 offset0:108 offset1:162
	v_add_u32_e32 v25, 0x200, v0
	ds_read2_b32 v[18:19], v25 offset0:88 offset1:142
	s_waitcnt lgkmcnt(3)
	v_pk_add_f16 v31, v7, v28 neg_lo:[0,1] neg_hi:[0,1]
	s_mov_b32 s14, 0xb1e1
	v_pk_add_f16 v30, v28, v7
	s_waitcnt lgkmcnt(1)
	v_pk_add_f16 v32, v20, v9 neg_lo:[0,1] neg_hi:[0,1]
	v_pk_mul_f16 v12, v31, s14 op_sel_hi:[1,0]
	s_mov_b32 s6, 0xbbdd
	s_movk_i32 s20, 0x35c8
	v_pk_add_f16 v29, v9, v20
	v_pk_add_f16 v33, v21, v8 neg_lo:[0,1] neg_hi:[0,1]
	v_pk_fma_f16 v42, v30, s6, v12 op_sel:[0,0,1] op_sel_hi:[1,0,0] neg_lo:[0,0,1] neg_hi:[0,0,1]
	v_pk_fma_f16 v43, v30, s6, v12 op_sel:[0,0,1] op_sel_hi:[1,0,0]
	v_pk_mul_f16 v12, v32, s20 op_sel_hi:[1,0]
	s_movk_i32 s9, 0x3b76
	s_mov_b32 s16, 0xb836
	v_pk_add_f16 v27, v8, v21
	v_pk_fma_f16 v44, v29, s9, v12 op_sel:[0,0,1] op_sel_hi:[1,0,0] neg_lo:[0,0,1] neg_hi:[0,0,1]
	v_pk_fma_f16 v45, v29, s9, v12 op_sel:[0,0,1] op_sel_hi:[1,0,0]
	v_pk_mul_f16 v12, v33, s16 op_sel_hi:[1,0]
	s_mov_b32 s7, 0xbacd
	s_movk_i32 s24, 0x3964
	s_waitcnt lgkmcnt(0)
	v_pk_add_f16 v38, v18, v11 neg_lo:[0,1] neg_hi:[0,1]
	v_pk_fma_f16 v46, v27, s7, v12 op_sel:[0,0,1] op_sel_hi:[1,0,0] neg_lo:[0,0,1] neg_hi:[0,0,1]
	v_pk_fma_f16 v47, v27, s7, v12 op_sel:[0,0,1] op_sel_hi:[1,0,0]
	s_movk_i32 s15, 0x39e9
	v_pk_add_f16 v34, v11, v18
	v_pk_mul_f16 v12, v38, s24 op_sel_hi:[1,0]
	v_add_u32_e32 v26, 0x400, v0
	v_pk_fma_f16 v48, v34, s15, v12 op_sel:[0,0,1] op_sel_hi:[1,0,0] neg_lo:[0,0,1] neg_hi:[0,0,1]
	v_pk_fma_f16 v49, v34, s15, v12 op_sel:[0,0,1] op_sel_hi:[1,0,0]
	ds_read2_b32 v[14:15], v26 offset0:68 offset1:122
	ds_read2_b32 v[12:13], v24 offset0:28 offset1:82
	s_mov_b32 s19, 0xba62
	v_pk_add_f16 v39, v19, v10 neg_lo:[0,1] neg_hi:[0,1]
	s_mov_b32 s8, 0xb8d2
	v_pk_add_f16 v35, v10, v19
	v_pk_mul_f16 v16, v39, s19 op_sel_hi:[1,0]
	s_movk_i32 s23, 0x3b29
	s_waitcnt lgkmcnt(0)
	v_pk_add_f16 v41, v14, v13 neg_lo:[0,1] neg_hi:[0,1]
	v_pk_fma_f16 v52, v35, s8, v16 op_sel:[0,0,1] op_sel_hi:[1,0,0] neg_lo:[0,0,1] neg_hi:[0,0,1]
	v_pk_fma_f16 v53, v35, s8, v16 op_sel:[0,0,1] op_sel_hi:[1,0,0]
	s_movk_i32 s17, 0x3722
	v_pk_add_f16 v36, v13, v14
	v_pk_mul_f16 v16, v41, s23 op_sel_hi:[1,0]
	s_mov_b32 s22, 0xbbb2
	v_pk_add_f16 v50, v15, v12 neg_lo:[0,1] neg_hi:[0,1]
	v_pk_fma_f16 v54, v36, s17, v16 op_sel:[0,0,1] op_sel_hi:[1,0,0] neg_lo:[0,0,1] neg_hi:[0,0,1]
	v_pk_fma_f16 v55, v36, s17, v16 op_sel:[0,0,1] op_sel_hi:[1,0,0]
	s_mov_b32 s18, 0xb461
	v_pk_add_f16 v37, v12, v15
	v_pk_mul_f16 v16, v50, s22 op_sel_hi:[1,0]
	v_pk_fma_f16 v56, v37, s18, v16 op_sel:[0,0,1] op_sel_hi:[1,0,0] neg_lo:[0,0,1] neg_hi:[0,0,1]
	v_pk_fma_f16 v57, v37, s18, v16 op_sel:[0,0,1] op_sel_hi:[1,0,0]
	v_add_f16_e32 v16, v6, v42
	v_add_f16_e32 v16, v44, v16
	;; [unrolled: 1-line block ×3, first 2 shown]
	ds_read2_b32 v[16:17], v26 offset0:176 offset1:230
	s_movk_i32 s29, 0x3bf7
	s_movk_i32 s21, 0x2de8
	v_add_f16_e32 v22, v48, v22
	v_add_f16_e32 v22, v52, v22
	s_waitcnt lgkmcnt(0)
	v_pk_add_f16 v51, v16, v17 neg_lo:[0,1] neg_hi:[0,1]
	v_pk_add_f16 v40, v17, v16
	v_pk_mul_f16 v23, v51, s29 op_sel_hi:[1,0]
	v_pk_fma_f16 v58, v40, s21, v23 op_sel:[0,0,1] op_sel_hi:[1,0,0] neg_lo:[0,0,1] neg_hi:[0,0,1]
	v_pk_fma_f16 v59, v40, s21, v23 op_sel:[0,0,1] op_sel_hi:[1,0,0]
	v_add_f16_sdwa v23, v6, v43 dst_sel:DWORD dst_unused:UNUSED_PAD src0_sel:WORD_1 src1_sel:WORD_1
	v_add_f16_sdwa v23, v45, v23 dst_sel:DWORD dst_unused:UNUSED_PAD src0_sel:WORD_1 src1_sel:DWORD
	v_add_f16_sdwa v23, v47, v23 dst_sel:DWORD dst_unused:UNUSED_PAD src0_sel:WORD_1 src1_sel:DWORD
	;; [unrolled: 1-line block ×4, first 2 shown]
	v_add_f16_e32 v22, v54, v22
	v_add_f16_sdwa v23, v55, v23 dst_sel:DWORD dst_unused:UNUSED_PAD src0_sel:WORD_1 src1_sel:DWORD
	v_add_f16_e32 v22, v56, v22
	v_add_f16_sdwa v23, v57, v23 dst_sel:DWORD dst_unused:UNUSED_PAD src0_sel:WORD_1 src1_sel:DWORD
	;; [unrolled: 2-line block ×3, first 2 shown]
	v_cmp_gt_u32_e64 s[0:1], 54, v5
	s_barrier
	s_and_saveexec_b64 s[4:5], s[0:1]
	s_cbranch_execz .LBB0_15
; %bb.14:
	s_mov_b32 s0, 0xffff
	v_bfi_b32 v42, s0, v43, v42
	v_bfi_b32 v43, s0, v45, v44
	v_bfi_b32 v44, s0, v47, v46
	v_bfi_b32 v46, s0, v53, v52
	v_mul_f16_sdwa v53, v30, s7 dst_sel:DWORD dst_unused:UNUSED_PAD src0_sel:WORD_1 src1_sel:DWORD
	s_movk_i32 s26, 0x3836
	v_bfi_b32 v47, s0, v55, v54
	v_fma_f16 v52, v31, s26, v53
	v_mul_f16_sdwa v54, v29, s17 dst_sel:DWORD dst_unused:UNUSED_PAD src0_sel:WORD_1 src1_sel:DWORD
	s_mov_b32 s1, 0xbb29
	v_add_f16_sdwa v52, v6, v52 dst_sel:DWORD dst_unused:UNUSED_PAD src0_sel:WORD_1 src1_sel:DWORD
	v_fma_f16 v55, v32, s1, v54
	v_add_f16_e32 v52, v55, v52
	v_mul_f16_sdwa v55, v27, s21 dst_sel:DWORD dst_unused:UNUSED_PAD src0_sel:WORD_1 src1_sel:DWORD
	v_bfi_b32 v45, s0, v49, v48
	v_bfi_b32 v48, s0, v57, v56
	v_fma_f16 v56, v33, s29, v55
	v_add_f16_e32 v52, v56, v52
	v_mul_f16_sdwa v56, v34, s8 dst_sel:DWORD dst_unused:UNUSED_PAD src0_sel:WORD_1 src1_sel:DWORD
	v_fma_f16 v57, v38, s19, v56
	v_add_f16_e32 v52, v57, v52
	v_mul_f16_sdwa v57, v35, s9 dst_sel:DWORD dst_unused:UNUSED_PAD src0_sel:WORD_1 src1_sel:DWORD
	v_bfi_b32 v49, s0, v59, v58
	v_fma_f16 v58, v39, s20, v57
	v_add_f16_e32 v52, v58, v52
	v_mul_f16_sdwa v58, v36, s6 dst_sel:DWORD dst_unused:UNUSED_PAD src0_sel:WORD_1 src1_sel:DWORD
	s_movk_i32 s30, 0x31e1
	v_fma_f16 v59, v41, s30, v58
	v_add_f16_e32 v52, v59, v52
	v_mul_f16_sdwa v59, v37, s15 dst_sel:DWORD dst_unused:UNUSED_PAD src0_sel:WORD_1 src1_sel:DWORD
	s_mov_b32 s25, 0xb964
	v_fma_f16 v60, v50, s25, v59
	v_add_f16_e32 v52, v60, v52
	v_mul_f16_sdwa v60, v40, s18 dst_sel:DWORD dst_unused:UNUSED_PAD src0_sel:WORD_1 src1_sel:DWORD
	s_movk_i32 s28, 0x3bb2
	v_fma_f16 v61, v51, s28, v60
	v_add_f16_e32 v52, v61, v52
	v_mul_f16_sdwa v61, v31, s16 dst_sel:DWORD dst_unused:UNUSED_PAD src0_sel:WORD_1 src1_sel:DWORD
	v_fma_f16 v62, v30, s7, v61
	v_add_f16_e32 v63, v6, v62
	v_mul_f16_sdwa v62, v32, s23 dst_sel:DWORD dst_unused:UNUSED_PAD src0_sel:WORD_1 src1_sel:DWORD
	v_fma_f16 v64, v29, s17, v62
	s_mov_b32 s27, 0xbbf7
	v_add_f16_e32 v64, v64, v63
	v_mul_f16_sdwa v63, v33, s27 dst_sel:DWORD dst_unused:UNUSED_PAD src0_sel:WORD_1 src1_sel:DWORD
	s_movk_i32 s31, 0x3a62
	v_pk_add_f16 v7, v6, v7
	v_fma_f16 v65, v27, s21, v63
	v_pk_add_f16 v7, v7, v20
	v_mul_f16_sdwa v20, v38, s31 dst_sel:DWORD dst_unused:UNUSED_PAD src0_sel:WORD_1 src1_sel:DWORD
	v_add_f16_e32 v64, v65, v64
	v_pk_add_f16 v7, v7, v21
	v_fma_f16 v21, v34, s8, v20
	s_mov_b32 s33, 0xb5c8
	v_add_f16_e32 v21, v21, v64
	v_mul_f16_sdwa v64, v39, s33 dst_sel:DWORD dst_unused:UNUSED_PAD src0_sel:WORD_1 src1_sel:DWORD
	v_fma_f16 v65, v35, s9, v64
	v_pk_add_f16 v7, v7, v18
	v_mul_f16_sdwa v18, v41, s14 dst_sel:DWORD dst_unused:UNUSED_PAD src0_sel:WORD_1 src1_sel:DWORD
	v_add_f16_e32 v21, v65, v21
	v_pk_add_f16 v7, v7, v19
	v_fma_f16 v19, v36, s6, v18
	v_add_f16_e32 v19, v19, v21
	v_mul_f16_sdwa v21, v50, s24 dst_sel:DWORD dst_unused:UNUSED_PAD src0_sel:WORD_1 src1_sel:DWORD
	v_fma_f16 v65, v37, s15, v21
	v_pk_add_f16 v7, v7, v14
	v_mul_f16_sdwa v14, v51, s22 dst_sel:DWORD dst_unused:UNUSED_PAD src0_sel:WORD_1 src1_sel:DWORD
	v_add_f16_e32 v19, v65, v19
	v_pk_add_f16 v7, v7, v15
	v_fma_f16 v15, v40, s18, v14
	v_add_f16_e32 v15, v15, v19
	v_mul_f16_sdwa v19, v30, s8 dst_sel:DWORD dst_unused:UNUSED_PAD src0_sel:WORD_1 src1_sel:DWORD
	v_pk_add_f16 v7, v7, v16
	v_pk_add_f16 v7, v7, v17
	v_fma_f16 v16, v31, s31, v19
	v_mul_f16_sdwa v17, v29, s18 dst_sel:DWORD dst_unused:UNUSED_PAD src0_sel:WORD_1 src1_sel:DWORD
	v_add_f16_sdwa v16, v6, v16 dst_sel:DWORD dst_unused:UNUSED_PAD src0_sel:WORD_1 src1_sel:DWORD
	v_fma_f16 v65, v32, s22, v17
	v_pk_add_f16 v7, v7, v12
	v_mul_f16_sdwa v12, v27, s9 dst_sel:DWORD dst_unused:UNUSED_PAD src0_sel:WORD_1 src1_sel:DWORD
	v_add_f16_e32 v16, v65, v16
	v_pk_add_f16 v7, v7, v13
	v_fma_f16 v13, v33, s20, v12
	v_add_f16_e32 v13, v13, v16
	v_mul_f16_sdwa v16, v34, s7 dst_sel:DWORD dst_unused:UNUSED_PAD src0_sel:WORD_1 src1_sel:DWORD
	v_fma_f16 v65, v38, s26, v16
	v_pk_add_f16 v7, v7, v10
	v_mul_f16_sdwa v10, v35, s21 dst_sel:DWORD dst_unused:UNUSED_PAD src0_sel:WORD_1 src1_sel:DWORD
	v_add_f16_e32 v13, v65, v13
	v_pk_add_f16 v7, v7, v11
	v_fma_f16 v11, v39, s27, v10
	v_add_f16_e32 v11, v11, v13
	v_mul_f16_sdwa v13, v36, s15 dst_sel:DWORD dst_unused:UNUSED_PAD src0_sel:WORD_1 src1_sel:DWORD
	v_fma_f16 v65, v41, s24, v13
	v_add_f16_e32 v11, v65, v11
	v_mul_f16_sdwa v65, v37, s6 dst_sel:DWORD dst_unused:UNUSED_PAD src0_sel:WORD_1 src1_sel:DWORD
	;; [unrolled: 3-line block ×4, first 2 shown]
	v_fma_f16 v68, v30, s8, v67
	v_mul_f16_sdwa v69, v32, s28 dst_sel:DWORD dst_unused:UNUSED_PAD src0_sel:WORD_1 src1_sel:DWORD
	v_add_f16_e32 v68, v6, v68
	v_fma_f16 v70, v29, s18, v69
	v_add_f16_e32 v68, v70, v68
	v_mul_f16_sdwa v70, v33, s33 dst_sel:DWORD dst_unused:UNUSED_PAD src0_sel:WORD_1 src1_sel:DWORD
	v_fma_f16 v71, v27, s9, v70
	v_add_f16_e32 v68, v71, v68
	v_mul_f16_sdwa v71, v38, s16 dst_sel:DWORD dst_unused:UNUSED_PAD src0_sel:WORD_1 src1_sel:DWORD
	;; [unrolled: 3-line block ×7, first 2 shown]
	v_fma_f16 v77, v31, s28, v76
	v_mul_f16_sdwa v78, v29, s7 dst_sel:DWORD dst_unused:UNUSED_PAD src0_sel:WORD_1 src1_sel:DWORD
	v_add_f16_sdwa v77, v6, v77 dst_sel:DWORD dst_unused:UNUSED_PAD src0_sel:WORD_1 src1_sel:DWORD
	v_fma_f16 v79, v32, s16, v78
	v_add_f16_e32 v77, v79, v77
	v_mul_f16_sdwa v79, v27, s15 dst_sel:DWORD dst_unused:UNUSED_PAD src0_sel:WORD_1 src1_sel:DWORD
	v_fma_f16 v80, v33, s25, v79
	v_add_f16_e32 v77, v80, v77
	v_mul_f16_sdwa v80, v34, s17 dst_sel:DWORD dst_unused:UNUSED_PAD src0_sel:WORD_1 src1_sel:DWORD
	;; [unrolled: 3-line block ×7, first 2 shown]
	v_fma_f16 v86, v30, s18, v85
	v_mul_f16_sdwa v87, v32, s26 dst_sel:DWORD dst_unused:UNUSED_PAD src0_sel:WORD_1 src1_sel:DWORD
	v_add_f16_e32 v86, v6, v86
	v_fma_f16 v88, v29, s7, v87
	v_add_f16_e32 v86, v88, v86
	v_mul_f16_sdwa v88, v33, s24 dst_sel:DWORD dst_unused:UNUSED_PAD src0_sel:WORD_1 src1_sel:DWORD
	v_fma_f16 v89, v27, s15, v88
	v_fma_f16 v53, v31, s16, v53
	v_add_f16_e32 v86, v89, v86
	v_mul_f16_sdwa v89, v38, s1 dst_sel:DWORD dst_unused:UNUSED_PAD src0_sel:WORD_1 src1_sel:DWORD
	v_add_f16_sdwa v53, v6, v53 dst_sel:DWORD dst_unused:UNUSED_PAD src0_sel:WORD_1 src1_sel:DWORD
	v_fma_f16 v54, v32, s23, v54
	v_fma_f16 v90, v34, s17, v89
	v_add_f16_e32 v53, v54, v53
	v_fma_f16 v54, v33, s27, v55
	v_add_f16_e32 v86, v90, v86
	v_mul_f16_sdwa v90, v39, s14 dst_sel:DWORD dst_unused:UNUSED_PAD src0_sel:WORD_1 src1_sel:DWORD
	v_add_f16_e32 v53, v54, v53
	v_fma_f16 v54, v38, s31, v56
	v_fma_f16 v91, v35, s6, v90
	v_add_f16_e32 v53, v54, v53
	v_fma_f16 v54, v39, s33, v57
	v_add_f16_e32 v86, v91, v86
	v_mul_f16_sdwa v91, v41, s29 dst_sel:DWORD dst_unused:UNUSED_PAD src0_sel:WORD_1 src1_sel:DWORD
	v_add_f16_e32 v53, v54, v53
	;; [unrolled: 7-line block ×3, first 2 shown]
	v_fma_f16 v54, v51, s22, v60
	v_fma_f16 v93, v37, s9, v92
	v_add_f16_e32 v53, v54, v53
	v_fma_f16 v54, v30, s7, -v61
	v_add_f16_e32 v86, v93, v86
	v_mul_f16_sdwa v93, v51, s19 dst_sel:DWORD dst_unused:UNUSED_PAD src0_sel:WORD_1 src1_sel:DWORD
	v_add_f16_e32 v54, v6, v54
	v_fma_f16 v55, v29, s17, -v62
	v_fma_f16 v94, v40, s8, v93
	v_add_f16_e32 v54, v55, v54
	v_fma_f16 v55, v27, s21, -v63
	v_add_f16_e32 v86, v94, v86
	v_mul_f16_sdwa v94, v30, s21 dst_sel:DWORD dst_unused:UNUSED_PAD src0_sel:WORD_1 src1_sel:DWORD
	v_add_f16_e32 v54, v55, v54
	v_fma_f16 v20, v34, s8, -v20
	v_fma_f16 v95, v31, s29, v94
	v_mul_f16_sdwa v96, v29, s6 dst_sel:DWORD dst_unused:UNUSED_PAD src0_sel:WORD_1 src1_sel:DWORD
	v_add_f16_e32 v20, v20, v54
	v_fma_f16 v54, v35, s9, -v64
	v_add_f16_sdwa v95, v6, v95 dst_sel:DWORD dst_unused:UNUSED_PAD src0_sel:WORD_1 src1_sel:DWORD
	v_fma_f16 v97, v32, s30, v96
	v_add_f16_e32 v20, v54, v20
	v_fma_f16 v18, v36, s6, -v18
	v_add_f16_e32 v95, v97, v95
	v_mul_f16_sdwa v97, v27, s18 dst_sel:DWORD dst_unused:UNUSED_PAD src0_sel:WORD_1 src1_sel:DWORD
	v_add_f16_e32 v18, v18, v20
	v_fma_f16 v20, v37, s15, -v21
	v_fma_f16 v98, v33, s22, v97
	v_add_f16_e32 v18, v20, v18
	v_fma_f16 v14, v40, s18, -v14
	v_add_f16_e32 v95, v98, v95
	v_mul_f16_sdwa v98, v34, s9 dst_sel:DWORD dst_unused:UNUSED_PAD src0_sel:WORD_1 src1_sel:DWORD
	v_add_f16_e32 v14, v14, v18
	v_fma_f16 v18, v31, s19, v19
	v_fma_f16 v99, v38, s33, v98
	v_add_f16_sdwa v18, v6, v18 dst_sel:DWORD dst_unused:UNUSED_PAD src0_sel:WORD_1 src1_sel:DWORD
	v_fma_f16 v17, v32, s28, v17
	v_add_f16_e32 v95, v99, v95
	v_mul_f16_sdwa v99, v35, s17 dst_sel:DWORD dst_unused:UNUSED_PAD src0_sel:WORD_1 src1_sel:DWORD
	v_add_f16_e32 v17, v17, v18
	v_fma_f16 v12, v33, s33, v12
	v_fma_f16 v100, v39, s23, v99
	v_add_f16_e32 v12, v12, v17
	v_fma_f16 v16, v38, s16, v16
	v_add_f16_e32 v95, v100, v95
	v_mul_f16_sdwa v100, v36, s7 dst_sel:DWORD dst_unused:UNUSED_PAD src0_sel:WORD_1 src1_sel:DWORD
	v_add_f16_e32 v12, v16, v12
	v_fma_f16 v10, v39, s29, v10
	v_fma_f16 v101, v41, s26, v100
	v_add_f16_e32 v10, v10, v12
	;; [unrolled: 7-line block ×3, first 2 shown]
	v_fma_f16 v12, v51, s23, v66
	v_add_f16_e32 v95, v102, v95
	v_mul_f16_sdwa v102, v40, s15 dst_sel:DWORD dst_unused:UNUSED_PAD src0_sel:WORD_1 src1_sel:DWORD
	v_add_f16_e32 v10, v12, v10
	v_fma_f16 v12, v30, s8, -v67
	v_fma_f16 v103, v51, s25, v102
	v_add_f16_e32 v12, v6, v12
	v_fma_f16 v13, v29, s18, -v69
	v_add_f16_e32 v95, v103, v95
	v_mul_f16_sdwa v103, v31, s27 dst_sel:DWORD dst_unused:UNUSED_PAD src0_sel:WORD_1 src1_sel:DWORD
	v_add_f16_e32 v12, v13, v12
	v_fma_f16 v13, v27, s9, -v70
	v_fma_f16 v104, v30, s21, v103
	v_mul_f16_sdwa v105, v32, s14 dst_sel:DWORD dst_unused:UNUSED_PAD src0_sel:WORD_1 src1_sel:DWORD
	v_add_f16_e32 v12, v13, v12
	v_fma_f16 v13, v34, s7, -v71
	v_add_f16_e32 v104, v6, v104
	v_fma_f16 v106, v29, s6, v105
	v_add_f16_e32 v12, v13, v12
	v_fma_f16 v13, v35, s21, -v72
	v_add_f16_e32 v104, v106, v104
	v_mul_f16_sdwa v106, v33, s28 dst_sel:DWORD dst_unused:UNUSED_PAD src0_sel:WORD_1 src1_sel:DWORD
	v_add_f16_e32 v12, v13, v12
	v_fma_f16 v13, v36, s15, -v73
	v_fma_f16 v107, v27, s18, v106
	v_add_f16_e32 v12, v13, v12
	v_fma_f16 v13, v37, s6, -v74
	v_add_f16_e32 v104, v107, v104
	v_mul_f16_sdwa v107, v38, s20 dst_sel:DWORD dst_unused:UNUSED_PAD src0_sel:WORD_1 src1_sel:DWORD
	v_add_f16_e32 v12, v13, v12
	v_fma_f16 v13, v40, s17, -v75
	v_fma_f16 v108, v34, s9, v107
	v_add_f16_e32 v12, v13, v12
	v_fma_f16 v13, v31, s22, v76
	v_add_f16_e32 v104, v108, v104
	v_mul_f16_sdwa v108, v39, s1 dst_sel:DWORD dst_unused:UNUSED_PAD src0_sel:WORD_1 src1_sel:DWORD
	v_add_f16_sdwa v13, v6, v13 dst_sel:DWORD dst_unused:UNUSED_PAD src0_sel:WORD_1 src1_sel:DWORD
	v_fma_f16 v16, v32, s26, v78
	v_fma_f16 v109, v35, s17, v108
	v_add_f16_e32 v13, v16, v13
	v_fma_f16 v16, v33, s24, v79
	v_add_f16_e32 v104, v109, v104
	v_mul_f16_sdwa v109, v41, s16 dst_sel:DWORD dst_unused:UNUSED_PAD src0_sel:WORD_1 src1_sel:DWORD
	v_add_f16_e32 v13, v16, v13
	v_fma_f16 v16, v38, s1, v80
	v_fma_f16 v110, v36, s7, v109
	v_add_f16_e32 v13, v16, v13
	v_fma_f16 v16, v39, s14, v81
	v_add_f16_e32 v104, v110, v104
	v_mul_f16_sdwa v110, v50, s31 dst_sel:DWORD dst_unused:UNUSED_PAD src0_sel:WORD_1 src1_sel:DWORD
	v_add_f16_e32 v13, v16, v13
	;; [unrolled: 7-line block ×3, first 2 shown]
	v_fma_f16 v16, v51, s19, v84
	v_fma_f16 v112, v40, s15, v111
	v_add_f16_e32 v13, v16, v13
	v_fma_f16 v16, v30, s18, -v85
	v_add_f16_e32 v104, v112, v104
	v_mul_f16_sdwa v112, v30, s17 dst_sel:DWORD dst_unused:UNUSED_PAD src0_sel:WORD_1 src1_sel:DWORD
	v_add_f16_e32 v16, v6, v16
	v_fma_f16 v17, v29, s7, -v87
	v_fma_f16 v113, v31, s23, v112
	v_mul_f16_sdwa v114, v29, s8 dst_sel:DWORD dst_unused:UNUSED_PAD src0_sel:WORD_1 src1_sel:DWORD
	v_add_f16_e32 v16, v17, v16
	v_fma_f16 v17, v27, s15, -v88
	v_add_f16_sdwa v113, v6, v113 dst_sel:DWORD dst_unused:UNUSED_PAD src0_sel:WORD_1 src1_sel:DWORD
	v_fma_f16 v115, v32, s31, v114
	v_add_f16_e32 v16, v17, v16
	v_fma_f16 v17, v34, s17, -v89
	v_add_f16_e32 v113, v115, v113
	v_mul_f16_sdwa v115, v27, s6 dst_sel:DWORD dst_unused:UNUSED_PAD src0_sel:WORD_1 src1_sel:DWORD
	v_add_f16_e32 v16, v17, v16
	v_fma_f16 v17, v35, s6, -v90
	v_fma_f16 v116, v33, s14, v115
	v_add_f16_e32 v16, v17, v16
	v_fma_f16 v17, v36, s21, -v91
	v_add_f16_e32 v113, v116, v113
	v_mul_f16_sdwa v116, v34, s18 dst_sel:DWORD dst_unused:UNUSED_PAD src0_sel:WORD_1 src1_sel:DWORD
	v_add_f16_e32 v16, v17, v16
	v_fma_f16 v17, v37, s9, -v92
	v_fma_f16 v117, v38, s22, v116
	v_add_f16_e32 v16, v17, v16
	v_fma_f16 v17, v40, s8, -v93
	v_add_f16_e32 v113, v117, v113
	v_mul_f16_sdwa v117, v35, s15 dst_sel:DWORD dst_unused:UNUSED_PAD src0_sel:WORD_1 src1_sel:DWORD
	v_add_f16_e32 v16, v17, v16
	v_fma_f16 v17, v31, s27, v94
	v_fma_f16 v118, v39, s25, v117
	v_add_f16_sdwa v17, v6, v17 dst_sel:DWORD dst_unused:UNUSED_PAD src0_sel:WORD_1 src1_sel:DWORD
	v_fma_f16 v18, v32, s14, v96
	v_add_f16_e32 v113, v118, v113
	v_mul_f16_sdwa v118, v36, s9 dst_sel:DWORD dst_unused:UNUSED_PAD src0_sel:WORD_1 src1_sel:DWORD
	v_add_f16_e32 v17, v18, v17
	v_fma_f16 v18, v33, s28, v97
	v_fma_f16 v119, v41, s20, v118
	v_add_f16_e32 v17, v18, v17
	v_fma_f16 v18, v38, s20, v98
	v_add_f16_e32 v113, v119, v113
	v_mul_f16_sdwa v119, v37, s21 dst_sel:DWORD dst_unused:UNUSED_PAD src0_sel:WORD_1 src1_sel:DWORD
	v_add_f16_e32 v17, v18, v17
	v_fma_f16 v18, v39, s1, v99
	v_fma_f16 v120, v50, s29, v119
	v_add_f16_e32 v17, v18, v17
	;; [unrolled: 7-line block ×3, first 2 shown]
	v_fma_f16 v18, v51, s24, v102
	v_add_f16_e32 v113, v121, v113
	v_mul_f16_sdwa v121, v31, s1 dst_sel:DWORD dst_unused:UNUSED_PAD src0_sel:WORD_1 src1_sel:DWORD
	v_add_f16_e32 v17, v18, v17
	v_fma_f16 v18, v30, s21, -v103
	v_fma_f16 v122, v30, s17, v121
	v_mul_f16_sdwa v123, v32, s19 dst_sel:DWORD dst_unused:UNUSED_PAD src0_sel:WORD_1 src1_sel:DWORD
	v_add_f16_e32 v18, v6, v18
	v_fma_f16 v19, v29, s6, -v105
	v_add_f16_e32 v122, v6, v122
	v_fma_f16 v124, v29, s8, v123
	v_add_f16_e32 v18, v19, v18
	v_fma_f16 v19, v27, s18, -v106
	v_add_f16_e32 v122, v124, v122
	v_mul_f16_sdwa v124, v33, s30 dst_sel:DWORD dst_unused:UNUSED_PAD src0_sel:WORD_1 src1_sel:DWORD
	v_add_f16_e32 v18, v19, v18
	v_fma_f16 v19, v34, s9, -v107
	v_fma_f16 v125, v27, s6, v124
	v_add_f16_e32 v18, v19, v18
	v_fma_f16 v19, v35, s17, -v108
	v_add_f16_e32 v122, v125, v122
	v_mul_f16_sdwa v125, v38, s28 dst_sel:DWORD dst_unused:UNUSED_PAD src0_sel:WORD_1 src1_sel:DWORD
	v_add_f16_e32 v18, v19, v18
	v_fma_f16 v19, v36, s7, -v109
	;; [unrolled: 7-line block ×3, first 2 shown]
	v_fma_f16 v127, v35, s15, v126
	v_add_f16_e32 v18, v19, v18
	v_fma_f16 v19, v31, s1, v112
	v_add_f16_e32 v122, v127, v122
	v_mul_f16_sdwa v127, v41, s33 dst_sel:DWORD dst_unused:UNUSED_PAD src0_sel:WORD_1 src1_sel:DWORD
	v_add_f16_sdwa v19, v6, v19 dst_sel:DWORD dst_unused:UNUSED_PAD src0_sel:WORD_1 src1_sel:DWORD
	v_fma_f16 v20, v32, s19, v114
	v_fma_f16 v128, v36, s9, v127
	v_add_f16_e32 v19, v20, v19
	v_fma_f16 v20, v33, s30, v115
	v_add_f16_e32 v122, v128, v122
	v_mul_f16_sdwa v128, v50, s27 dst_sel:DWORD dst_unused:UNUSED_PAD src0_sel:WORD_1 src1_sel:DWORD
	v_add_f16_e32 v19, v20, v19
	v_fma_f16 v20, v38, s28, v116
	v_fma_f16 v129, v37, s21, v128
	v_add_f16_e32 v19, v20, v19
	v_fma_f16 v20, v39, s24, v117
	v_add_f16_e32 v122, v129, v122
	v_mul_f16_sdwa v129, v51, s16 dst_sel:DWORD dst_unused:UNUSED_PAD src0_sel:WORD_1 src1_sel:DWORD
	v_add_f16_e32 v19, v20, v19
	;; [unrolled: 7-line block ×3, first 2 shown]
	v_fma_f16 v20, v51, s16, v120
	v_fma_f16 v131, v31, s24, v130
	v_mul_f16_sdwa v132, v29, s21 dst_sel:DWORD dst_unused:UNUSED_PAD src0_sel:WORD_1 src1_sel:DWORD
	v_add_f16_e32 v19, v20, v19
	v_fma_f16 v20, v30, s17, -v121
	v_add_f16_sdwa v131, v6, v131 dst_sel:DWORD dst_unused:UNUSED_PAD src0_sel:WORD_1 src1_sel:DWORD
	v_fma_f16 v133, v32, s29, v132
	v_add_f16_e32 v20, v6, v20
	v_fma_f16 v21, v29, s8, -v123
	v_add_f16_e32 v131, v133, v131
	v_mul_f16_sdwa v133, v27, s8 dst_sel:DWORD dst_unused:UNUSED_PAD src0_sel:WORD_1 src1_sel:DWORD
	v_add_f16_e32 v20, v21, v20
	v_fma_f16 v21, v27, s6, -v124
	v_fma_f16 v134, v33, s31, v133
	v_add_f16_e32 v20, v21, v20
	v_fma_f16 v21, v34, s18, -v125
	v_add_f16_e32 v131, v134, v131
	v_mul_f16_sdwa v134, v34, s6 dst_sel:DWORD dst_unused:UNUSED_PAD src0_sel:WORD_1 src1_sel:DWORD
	v_add_f16_e32 v20, v21, v20
	v_fma_f16 v21, v35, s15, -v126
	;; [unrolled: 7-line block ×3, first 2 shown]
	v_fma_f16 v136, v39, s16, v135
	v_add_f16_e32 v20, v21, v20
	v_fma_f16 v21, v40, s7, -v129
	v_add_f16_e32 v131, v136, v131
	v_mul_f16_sdwa v136, v36, s18 dst_sel:DWORD dst_unused:UNUSED_PAD src0_sel:WORD_1 src1_sel:DWORD
	v_add_f16_e32 v20, v21, v20
	v_fma_f16 v21, v31, s25, v130
	v_fma_f16 v137, v41, s22, v136
	v_add_f16_sdwa v21, v6, v21 dst_sel:DWORD dst_unused:UNUSED_PAD src0_sel:WORD_1 src1_sel:DWORD
	v_fma_f16 v54, v32, s27, v132
	v_add_f16_e32 v131, v137, v131
	v_mul_f16_sdwa v137, v37, s17 dst_sel:DWORD dst_unused:UNUSED_PAD src0_sel:WORD_1 src1_sel:DWORD
	v_add_f16_e32 v21, v54, v21
	v_fma_f16 v54, v33, s19, v133
	v_fma_f16 v138, v50, s1, v137
	v_add_f16_e32 v21, v54, v21
	v_fma_f16 v54, v38, s14, v134
	v_add_f16_e32 v131, v138, v131
	v_mul_f16_sdwa v138, v40, s9 dst_sel:DWORD dst_unused:UNUSED_PAD src0_sel:WORD_1 src1_sel:DWORD
	v_add_f16_e32 v21, v54, v21
	v_fma_f16 v54, v39, s26, v135
	v_fma_f16 v139, v51, s33, v138
	v_add_f16_e32 v21, v54, v21
	v_fma_f16 v54, v41, s28, v136
	v_add_f16_e32 v131, v139, v131
	v_mul_f16_sdwa v139, v31, s25 dst_sel:DWORD dst_unused:UNUSED_PAD src0_sel:WORD_1 src1_sel:DWORD
	v_add_f16_e32 v21, v54, v21
	v_fma_f16 v54, v50, s23, v137
	v_pk_mul_f16 v31, v31, s33 op_sel_hi:[1,0]
	v_pk_add_f16 v7, v7, v8
	v_fma_f16 v140, v30, s15, v139
	v_mul_f16_sdwa v141, v32, s27 dst_sel:DWORD dst_unused:UNUSED_PAD src0_sel:WORD_1 src1_sel:DWORD
	v_add_f16_e32 v21, v54, v21
	v_fma_f16 v54, v51, s20, v138
	v_pk_mul_f16 v32, v32, s25 op_sel_hi:[1,0]
	v_pk_add_f16 v7, v7, v9
	v_pk_fma_f16 v8, v30, s9, v31 op_sel:[0,0,1] op_sel_hi:[1,0,0]
	v_pk_fma_f16 v9, v30, s9, v31 op_sel:[0,0,1] op_sel_hi:[1,0,0] neg_lo:[0,0,1] neg_hi:[0,0,1]
	v_add_f16_e32 v140, v6, v140
	v_fma_f16 v142, v29, s21, v141
	v_add_f16_e32 v21, v54, v21
	v_fma_f16 v54, v30, s15, -v139
	v_fma_f16 v55, v29, s21, -v141
	v_pk_add_f16 v7, v7, v28
	v_bfi_b32 v28, s0, v8, v9
	v_pk_fma_f16 v30, v29, s15, v32 op_sel:[0,0,1] op_sel_hi:[1,0,0]
	v_pk_fma_f16 v29, v29, s15, v32 op_sel:[0,0,1] op_sel_hi:[1,0,0] neg_lo:[0,0,1] neg_hi:[0,0,1]
	v_add_f16_e32 v140, v142, v140
	v_mul_f16_sdwa v142, v33, s19 dst_sel:DWORD dst_unused:UNUSED_PAD src0_sel:WORD_1 src1_sel:DWORD
	v_add_f16_e32 v54, v6, v54
	v_pk_mul_f16 v33, v33, s1 op_sel_hi:[1,0]
	v_pk_add_f16 v28, v6, v28
	v_bfi_b32 v31, s0, v30, v29
	v_fma_f16 v143, v27, s8, v142
	v_add_f16_e32 v54, v55, v54
	v_fma_f16 v55, v27, s8, -v142
	v_pk_add_f16 v28, v31, v28
	v_pk_fma_f16 v31, v27, s17, v33 op_sel:[0,0,1] op_sel_hi:[1,0,0]
	v_pk_fma_f16 v27, v27, s17, v33 op_sel:[0,0,1] op_sel_hi:[1,0,0] neg_lo:[0,0,1] neg_hi:[0,0,1]
	v_add_f16_e32 v140, v143, v140
	v_mul_f16_sdwa v143, v38, s14 dst_sel:DWORD dst_unused:UNUSED_PAD src0_sel:WORD_1 src1_sel:DWORD
	v_pk_mul_f16 v38, v38, s27 op_sel_hi:[1,0]
	v_bfi_b32 v32, s0, v31, v27
	v_fma_f16 v144, v34, s6, v143
	v_pk_add_f16 v28, v32, v28
	v_pk_fma_f16 v32, v34, s21, v38 op_sel:[0,0,1] op_sel_hi:[1,0,0]
	v_pk_fma_f16 v33, v34, s21, v38 op_sel:[0,0,1] op_sel_hi:[1,0,0] neg_lo:[0,0,1] neg_hi:[0,0,1]
	v_add_f16_e32 v140, v144, v140
	v_mul_f16_sdwa v144, v39, s26 dst_sel:DWORD dst_unused:UNUSED_PAD src0_sel:WORD_1 src1_sel:DWORD
	v_add_f16_e32 v54, v55, v54
	v_fma_f16 v55, v34, s6, -v143
	v_pk_mul_f16 v39, v39, s22 op_sel_hi:[1,0]
	v_bfi_b32 v34, s0, v32, v33
	v_fma_f16 v145, v35, s7, v144
	v_add_f16_e32 v54, v55, v54
	v_fma_f16 v55, v35, s7, -v144
	v_pk_add_f16 v28, v34, v28
	v_pk_fma_f16 v34, v35, s18, v39 op_sel:[0,0,1] op_sel_hi:[1,0,0]
	v_pk_fma_f16 v35, v35, s18, v39 op_sel:[0,0,1] op_sel_hi:[1,0,0] neg_lo:[0,0,1] neg_hi:[0,0,1]
	v_add_f16_e32 v140, v145, v140
	v_mul_f16_sdwa v145, v41, s28 dst_sel:DWORD dst_unused:UNUSED_PAD src0_sel:WORD_1 src1_sel:DWORD
	v_pk_mul_f16 v41, v41, s19 op_sel_hi:[1,0]
	v_bfi_b32 v38, s0, v34, v35
	v_fma_f16 v146, v36, s18, v145
	v_add_f16_e32 v54, v55, v54
	v_fma_f16 v55, v36, s18, -v145
	v_pk_add_f16 v28, v38, v28
	v_pk_fma_f16 v38, v36, s8, v41 op_sel:[0,0,1] op_sel_hi:[1,0,0]
	v_pk_fma_f16 v36, v36, s8, v41 op_sel:[0,0,1] op_sel_hi:[1,0,0] neg_lo:[0,0,1] neg_hi:[0,0,1]
	v_add_f16_e32 v140, v146, v140
	v_mul_f16_sdwa v146, v50, s23 dst_sel:DWORD dst_unused:UNUSED_PAD src0_sel:WORD_1 src1_sel:DWORD
	;; [unrolled: 10-line block ×3, first 2 shown]
	v_pk_mul_f16 v51, v51, s14 op_sel_hi:[1,0]
	v_bfi_b32 v41, s0, v39, v37
	v_fma_f16 v148, v40, s9, v147
	v_add_f16_e32 v54, v55, v54
	v_fma_f16 v55, v40, s9, -v147
	v_pk_add_f16 v28, v41, v28
	v_pk_fma_f16 v41, v40, s6, v51 op_sel:[0,0,1] op_sel_hi:[1,0,0]
	v_pk_fma_f16 v40, v40, s6, v51 op_sel:[0,0,1] op_sel_hi:[1,0,0] neg_lo:[0,0,1] neg_hi:[0,0,1]
	v_bfi_b32 v50, s0, v41, v40
	v_add_f16_e32 v140, v148, v140
	v_add_f16_e32 v54, v55, v54
	v_lshl_add_u32 v55, v5, 6, v0
	v_pk_add_f16 v28, v50, v28
	ds_write2_b32 v55, v7, v28 offset1:1
	v_pack_b32_f16 v7, v122, v113
	v_pack_b32_f16 v28, v140, v131
	ds_write2_b32 v55, v28, v7 offset0:2 offset1:3
	v_pack_b32_f16 v7, v86, v77
	v_pack_b32_f16 v28, v104, v95
	ds_write2_b32 v55, v28, v7 offset0:4 offset1:5
	;; [unrolled: 3-line block ×3, first 2 shown]
	v_pk_add_f16 v7, v6, v42
	v_pk_add_f16 v7, v43, v7
	;; [unrolled: 1-line block ×7, first 2 shown]
	s_mov_b32 s1, 0x5040100
	v_pk_add_f16 v7, v49, v7
	v_perm_b32 v11, v23, v22, s1
	ds_write2_b32 v55, v7, v11 offset0:8 offset1:9
	v_pack_b32_f16 v7, v12, v10
	v_pack_b32_f16 v10, v14, v53
	ds_write2_b32 v55, v10, v7 offset0:10 offset1:11
	v_pack_b32_f16 v7, v18, v17
	v_pack_b32_f16 v10, v16, v13
	;; [unrolled: 3-line block ×3, first 2 shown]
	ds_write2_b32 v55, v10, v7 offset0:14 offset1:15
	v_bfi_b32 v7, s0, v9, v8
	v_pk_add_f16 v6, v6, v7
	v_bfi_b32 v7, s0, v29, v30
	v_pk_add_f16 v6, v7, v6
	;; [unrolled: 2-line block ×8, first 2 shown]
	ds_write_b32 v55, v6 offset:64
.LBB0_15:
	s_or_b64 exec, exec, s[4:5]
	s_movk_i32 s0, 0xf1
	v_mul_lo_u16_sdwa v6, v5, s0 dst_sel:DWORD dst_unused:UNUSED_PAD src0_sel:BYTE_0 src1_sel:DWORD
	v_lshrrev_b16_e32 v27, 12, v6
	v_mul_lo_u16_e32 v6, 17, v27
	v_sub_u16_e32 v28, v5, v6
	v_mov_b32_e32 v6, 5
	v_lshlrev_b32_sdwa v14, v6, v28 dst_sel:DWORD dst_unused:UNUSED_PAD src0_sel:DWORD src1_sel:BYTE_0
	s_load_dwordx2 s[4:5], s[2:3], 0x0
	s_waitcnt lgkmcnt(0)
	s_barrier
	global_load_dwordx4 v[6:9], v14, s[12:13]
	global_load_dwordx4 v[10:13], v14, s[12:13] offset:16
	ds_read2_b32 v[14:15], v0 offset1:102
	ds_read2_b32 v[16:17], v25 offset0:76 offset1:178
	ds_read2_b32 v[18:19], v26 offset0:152 offset1:254
	;; [unrolled: 1-line block ×3, first 2 shown]
	ds_read_b32 v26, v0 offset:3264
	s_waitcnt lgkmcnt(4)
	v_lshrrev_b32_e32 v32, 16, v15
	s_waitcnt lgkmcnt(3)
	v_lshrrev_b32_e32 v33, 16, v16
	;; [unrolled: 2-line block ×4, first 2 shown]
	v_lshrrev_b32_e32 v30, 16, v21
	s_waitcnt lgkmcnt(0)
	v_lshrrev_b32_e32 v31, 16, v26
	v_lshrrev_b32_e32 v34, 16, v17
	;; [unrolled: 1-line block ×3, first 2 shown]
	s_movk_i32 s0, 0x3be1
	s_movk_i32 s3, 0x3a21
	v_lshrrev_b32_e32 v37, 16, v14
	s_movk_i32 s1, 0x3aee
	s_movk_i32 s6, 0x318f
	;; [unrolled: 1-line block ×3, first 2 shown]
	s_mov_b32 s7, 0xbb84
	s_mov_b32 s8, 0xb924
	s_waitcnt vmcnt(0)
	s_barrier
	v_mul_f16_sdwa v38, v6, v32 dst_sel:DWORD dst_unused:UNUSED_PAD src0_sel:WORD_1 src1_sel:DWORD
	v_mul_f16_sdwa v39, v6, v15 dst_sel:DWORD dst_unused:UNUSED_PAD src0_sel:WORD_1 src1_sel:DWORD
	v_mul_f16_sdwa v46, v10, v36 dst_sel:DWORD dst_unused:UNUSED_PAD src0_sel:WORD_1 src1_sel:DWORD
	v_mul_f16_sdwa v48, v29, v11 dst_sel:DWORD dst_unused:UNUSED_PAD src0_sel:DWORD src1_sel:WORD_1
	v_mul_f16_sdwa v50, v30, v12 dst_sel:DWORD dst_unused:UNUSED_PAD src0_sel:DWORD src1_sel:WORD_1
	;; [unrolled: 1-line block ×4, first 2 shown]
	v_mul_f16_sdwa v40, v7, v33 dst_sel:DWORD dst_unused:UNUSED_PAD src0_sel:WORD_1 src1_sel:DWORD
	v_mul_f16_sdwa v41, v7, v16 dst_sel:DWORD dst_unused:UNUSED_PAD src0_sel:WORD_1 src1_sel:DWORD
	;; [unrolled: 1-line block ×4, first 2 shown]
	v_mul_f16_sdwa v49, v20, v11 dst_sel:DWORD dst_unused:UNUSED_PAD src0_sel:DWORD src1_sel:WORD_1
	v_mul_f16_sdwa v51, v21, v12 dst_sel:DWORD dst_unused:UNUSED_PAD src0_sel:DWORD src1_sel:WORD_1
	v_fma_f16 v15, v6, v15, v38
	v_fma_f16 v6, v6, v32, -v39
	v_fma_f16 v32, v10, v19, v46
	v_fma_f16 v19, v20, v11, v48
	;; [unrolled: 1-line block ×4, first 2 shown]
	v_fma_f16 v13, v31, v13, -v53
	v_mul_f16_sdwa v43, v8, v17 dst_sel:DWORD dst_unused:UNUSED_PAD src0_sel:WORD_1 src1_sel:DWORD
	v_fma_f16 v16, v7, v16, v40
	v_fma_f16 v7, v7, v33, -v41
	v_fma_f16 v17, v8, v17, v42
	v_fma_f16 v11, v29, v11, -v49
	v_fma_f16 v12, v30, v12, -v51
	v_add_f16_e32 v26, v15, v21
	v_add_f16_e32 v29, v6, v13
	v_sub_f16_e32 v15, v15, v21
	v_sub_f16_e32 v6, v6, v13
	v_mul_f16_sdwa v44, v9, v35 dst_sel:DWORD dst_unused:UNUSED_PAD src0_sel:WORD_1 src1_sel:DWORD
	v_mul_f16_sdwa v45, v9, v18 dst_sel:DWORD dst_unused:UNUSED_PAD src0_sel:WORD_1 src1_sel:DWORD
	v_fma_f16 v8, v8, v34, -v43
	v_add_f16_e32 v30, v16, v20
	v_add_f16_e32 v31, v7, v12
	;; [unrolled: 1-line block ×3, first 2 shown]
	v_sub_f16_e32 v13, v16, v20
	v_sub_f16_e32 v7, v7, v12
	;; [unrolled: 1-line block ×3, first 2 shown]
	v_mul_f16_e32 v19, 0x3924, v15
	v_mul_f16_e32 v20, 0x3924, v6
	v_fma_f16 v18, v9, v18, v44
	v_fma_f16 v9, v9, v35, -v45
	v_fma_f16 v10, v10, v36, -v47
	v_add_f16_e32 v34, v8, v11
	v_sub_f16_e32 v8, v8, v11
	v_fma_f16 v35, v29, s3, v37
	v_fma_f16 v19, v13, s0, v19
	;; [unrolled: 1-line block ×3, first 2 shown]
	v_sub_f16_e32 v11, v18, v32
	v_sub_f16_e32 v16, v9, v10
	v_fma_f16 v21, v26, s3, v14
	v_fma_f16 v35, v31, s6, v35
	;; [unrolled: 1-line block ×5, first 2 shown]
	v_fma_f16 v35, v34, -0.5, v35
	v_fma_f16 v36, v11, s2, v19
	v_fma_f16 v19, v16, s2, v20
	v_add_f16_e32 v20, v9, v10
	v_add_f16_e32 v17, v18, v32
	v_fma_f16 v21, v33, -0.5, v21
	v_fma_f16 v35, v20, s7, v35
	v_fma_f16 v21, v17, s7, v21
	v_add_f16_e32 v35, v36, v35
	v_sub_f16_e32 v38, v21, v19
	v_fma_f16 v21, v36, -2.0, v35
	v_mul_f16_e32 v36, 0xb924, v11
	v_mul_f16_e32 v39, 0xb924, v16
	v_fma_f16 v36, v15, s0, v36
	v_fma_f16 v39, v6, s0, v39
	s_mov_b32 s0, 0xbaee
	v_add_f16_e32 v42, v11, v15
	v_mul_f16_e32 v11, 0x3be1, v11
	v_fma_f16 v39, v8, s0, v39
	v_add_f16_e32 v43, v16, v6
	v_mul_f16_e32 v16, 0x3be1, v16
	v_fma_f16 v11, v13, s8, -v11
	v_fma_f16 v39, v7, s2, v39
	v_sub_f16_e32 v43, v43, v7
	v_add_f16_e32 v49, v31, v29
	v_fma_f16 v7, v7, s8, -v16
	v_fma_f16 v11, v12, s1, v11
	v_fma_f16 v7, v8, s1, v7
	;; [unrolled: 1-line block ×3, first 2 shown]
	v_add_f16_e32 v11, v34, v49
	v_add_f16_e32 v48, v30, v26
	;; [unrolled: 1-line block ×3, first 2 shown]
	v_fma_f16 v40, v17, s3, v14
	v_fma_f16 v41, v20, s3, v37
	;; [unrolled: 1-line block ×3, first 2 shown]
	v_add_f16_e32 v7, v33, v48
	v_add_f16_e32 v9, v10, v9
	v_fma_f16 v10, v30, s3, v14
	v_fma_f16 v11, v31, s3, v37
	;; [unrolled: 1-line block ×5, first 2 shown]
	v_add_f16_e32 v7, v18, v7
	v_fma_f16 v10, v17, s6, v10
	v_fma_f16 v11, v20, s6, v11
	;; [unrolled: 1-line block ×3, first 2 shown]
	v_fma_f16 v40, v33, -0.5, v40
	v_fma_f16 v41, v34, -0.5, v41
	v_sub_f16_e32 v42, v42, v13
	v_add_f16_e32 v46, v33, v14
	v_add_f16_e32 v47, v34, v37
	v_add_f16_e32 v50, v17, v48
	v_add_f16_e32 v51, v20, v49
	v_add_f16_e32 v7, v32, v7
	v_fma_f16 v10, v33, -0.5, v10
	v_fma_f16 v11, v34, -0.5, v11
	v_mov_b32_e32 v13, 2
	v_fma_f16 v40, v30, s7, v40
	v_fma_f16 v41, v31, s7, v41
	v_fma_f16 v46, v50, -0.5, v46
	v_fma_f16 v47, v51, -0.5, v47
	v_add_f16_e32 v7, v14, v7
	v_add_f16_e32 v9, v37, v9
	v_fma_f16 v10, v26, s7, v10
	v_fma_f16 v11, v29, s7, v11
	v_mul_u32_u24_e32 v12, 0x264, v27
	v_lshlrev_b32_sdwa v13, v13, v28 dst_sel:DWORD dst_unused:UNUSED_PAD src0_sel:DWORD src1_sel:BYTE_0
	v_sub_f16_e32 v40, v40, v39
	v_add_f16_e32 v41, v36, v41
	v_mul_f16_e32 v44, 0x3aee, v42
	v_mul_f16_e32 v45, 0x3aee, v43
	v_fma_f16 v43, v43, s0, v46
	v_fma_f16 v42, v42, s1, v47
	v_sub_f16_e32 v10, v10, v6
	v_add_f16_e32 v11, v8, v11
	v_add3_u32 v12, 0, v12, v13
	v_pack_b32_f16 v7, v7, v9
	v_pack_b32_f16 v9, v38, v35
	v_fma_f16 v6, v6, 2.0, v10
	v_fma_f16 v8, v8, -2.0, v11
	ds_write2_b32 v12, v7, v9 offset1:17
	v_pack_b32_f16 v7, v40, v41
	v_pack_b32_f16 v9, v43, v42
	v_fma_f16 v39, v39, 2.0, v40
	v_fma_f16 v36, v36, -2.0, v41
	v_fma_f16 v45, v45, 2.0, v43
	v_fma_f16 v44, v44, -2.0, v42
	ds_write2_b32 v12, v7, v9 offset0:34 offset1:51
	v_pack_b32_f16 v7, v10, v11
	v_pack_b32_f16 v6, v6, v8
	v_fma_f16 v19, v19, 2.0, v38
	ds_write2_b32 v12, v7, v6 offset0:68 offset1:85
	v_pack_b32_f16 v6, v45, v44
	v_pack_b32_f16 v7, v39, v36
	ds_write2_b32 v12, v6, v7 offset0:102 offset1:119
	v_pack_b32_f16 v6, v19, v21
	ds_write_b32 v12, v6 offset:544
	v_add_u32_e32 v6, 0x600, v0
	s_waitcnt lgkmcnt(0)
	s_barrier
	ds_read2_b32 v[11:12], v0 offset1:102
	ds_read2_b32 v[15:16], v6 offset0:75 offset1:177
	ds_read2_b32 v[13:14], v25 offset0:76 offset1:178
	;; [unrolled: 1-line block ×3, first 2 shown]
	v_cmp_gt_u32_e64 s[0:1], 51, v5
	s_and_saveexec_b64 s[2:3], s[0:1]
	s_cbranch_execz .LBB0_17
; %bb.16:
	ds_read_b32 v19, v0 offset:1632
	ds_read_b32 v22, v0 offset:3468
	s_waitcnt lgkmcnt(1)
	v_lshrrev_b32_e32 v21, 16, v19
	s_waitcnt lgkmcnt(0)
	v_lshrrev_b32_e32 v23, 16, v22
.LBB0_17:
	s_or_b64 exec, exec, s[2:3]
	v_mov_b32_e32 v6, 0
	v_add_u32_e32 v24, 0x66, v5
	v_add_u32_e32 v20, 0x132, v5
	v_lshlrev_b64 v[7:8], 2, v[5:6]
	v_subrev_u32_e32 v25, 51, v5
	s_movk_i32 s6, 0x358b
	v_cndmask_b32_e64 v25, v25, v24, s[0:1]
	v_mov_b32_e32 v26, v6
	v_mul_u32_u24_sdwa v29, v20, s6 dst_sel:DWORD dst_unused:UNUSED_PAD src0_sel:WORD_0 src1_sel:DWORD
	v_mov_b32_e32 v28, s13
	v_add_co_u32_e64 v9, s[2:3], s12, v7
	v_lshlrev_b64 v[26:27], 2, v[25:26]
	v_lshrrev_b32_e32 v29, 21, v29
	v_addc_co_u32_e64 v10, s[2:3], v28, v8, s[2:3]
	v_mul_lo_u16_e32 v29, 0x99, v29
	global_load_dword v30, v[9:10], off offset:544
	global_load_dword v31, v[9:10], off offset:748
	v_sub_u16_e32 v20, v20, v29
	v_add_co_u32_e64 v26, s[2:3], s12, v26
	v_lshlrev_b32_e32 v29, 2, v20
	v_addc_co_u32_e64 v27, s[2:3], v28, v27, s[2:3]
	global_load_dword v32, v29, s[12:13] offset:544
	v_cmp_lt_u32_e64 s[2:3], 50, v5
	global_load_dword v26, v[26:27], off offset:544
	v_mov_b32_e32 v27, 0x4c8
	v_cndmask_b32_e64 v27, 0, v27, s[2:3]
	v_lshlrev_b32_e32 v25, 2, v25
	v_add3_u32 v25, 0, v27, v25
	v_add_u32_e32 v27, 0, v29
	s_mov_b32 s7, 0xffff
	v_add_u32_e32 v20, 0x400, v0
	s_waitcnt vmcnt(0) lgkmcnt(0)
	s_barrier
	v_add_u32_e32 v27, 0x800, v27
	v_pk_mul_f16 v28, v30, v15 op_sel:[0,1]
	v_pk_mul_f16 v29, v31, v17 op_sel:[0,1]
	v_pk_fma_f16 v33, v30, v15, v28 op_sel:[0,0,1] op_sel_hi:[1,1,0]
	v_pk_fma_f16 v15, v30, v15, v28 op_sel:[0,0,1] op_sel_hi:[1,0,0] neg_lo:[1,0,0] neg_hi:[1,0,0]
	v_pk_fma_f16 v28, v31, v17, v29 op_sel:[0,0,1] op_sel_hi:[1,1,0]
	v_pk_fma_f16 v17, v31, v17, v29 op_sel:[0,0,1] op_sel_hi:[1,0,0] neg_lo:[1,0,0] neg_hi:[1,0,0]
	v_bfi_b32 v17, s7, v28, v17
	v_bfi_b32 v15, s7, v33, v15
	v_pk_mul_f16 v29, v32, v18 op_sel:[0,1]
	v_pk_fma_f16 v30, v32, v18, v29 op_sel:[0,0,1] op_sel_hi:[1,1,0]
	v_pk_mul_f16 v28, v26, v16 op_sel:[0,1]
	v_pk_fma_f16 v18, v32, v18, v29 op_sel:[0,0,1] op_sel_hi:[1,0,0] neg_lo:[1,0,0] neg_hi:[1,0,0]
	v_pk_fma_f16 v29, v26, v16, v28 op_sel:[0,0,1] op_sel_hi:[1,1,0]
	v_pk_fma_f16 v16, v26, v16, v28 op_sel:[0,0,1] op_sel_hi:[1,0,0] neg_lo:[1,0,0] neg_hi:[1,0,0]
	v_bfi_b32 v16, s7, v29, v16
	v_pk_add_f16 v15, v11, v15 neg_lo:[0,1] neg_hi:[0,1]
	v_bfi_b32 v18, s7, v30, v18
	v_pk_add_f16 v16, v12, v16 neg_lo:[0,1] neg_hi:[0,1]
	v_pk_add_f16 v17, v13, v17 neg_lo:[0,1] neg_hi:[0,1]
	v_pk_fma_f16 v11, v11, 2.0, v15 op_sel_hi:[1,0,1] neg_lo:[0,0,1] neg_hi:[0,0,1]
	v_pk_add_f16 v18, v14, v18 neg_lo:[0,1] neg_hi:[0,1]
	v_pk_fma_f16 v12, v12, 2.0, v16 op_sel_hi:[1,0,1] neg_lo:[0,0,1] neg_hi:[0,0,1]
	v_pk_fma_f16 v13, v13, 2.0, v17 op_sel_hi:[1,0,1] neg_lo:[0,0,1] neg_hi:[0,0,1]
	ds_write2_b32 v0, v11, v15 offset1:153
	v_pk_fma_f16 v11, v14, 2.0, v18 op_sel_hi:[1,0,1] neg_lo:[0,0,1] neg_hi:[0,0,1]
	ds_write2_b32 v25, v12, v16 offset1:153
	ds_write2_b32 v20, v13, v17 offset0:101 offset1:254
	ds_write2_b32 v27, v11, v18 offset0:100 offset1:253
	s_and_saveexec_b64 s[2:3], s[0:1]
	s_cbranch_execz .LBB0_19
; %bb.18:
	v_add_u32_e32 v11, 0x198, v5
	v_mul_u32_u24_sdwa v12, v11, s6 dst_sel:DWORD dst_unused:UNUSED_PAD src0_sel:WORD_0 src1_sel:DWORD
	v_lshrrev_b32_e32 v12, 21, v12
	v_mul_lo_u16_e32 v12, 0x99, v12
	v_sub_u16_e32 v11, v11, v12
	v_lshlrev_b32_e32 v11, 2, v11
	global_load_dword v12, v11, s[12:13] offset:544
	v_add_u32_e32 v11, 0, v11
	v_add_u32_e32 v11, 0x800, v11
	s_waitcnt vmcnt(0)
	v_mul_f16_sdwa v13, v23, v12 dst_sel:DWORD dst_unused:UNUSED_PAD src0_sel:DWORD src1_sel:WORD_1
	v_mul_f16_sdwa v14, v22, v12 dst_sel:DWORD dst_unused:UNUSED_PAD src0_sel:DWORD src1_sel:WORD_1
	v_fma_f16 v13, v22, v12, v13
	v_fma_f16 v12, v23, v12, -v14
	v_sub_f16_e32 v13, v19, v13
	v_sub_f16_e32 v12, v21, v12
	v_fma_f16 v14, v19, 2.0, -v13
	v_fma_f16 v15, v21, 2.0, -v12
	v_pack_b32_f16 v12, v13, v12
	v_pack_b32_f16 v13, v14, v15
	ds_write2_b32 v11, v13, v12 offset0:100 offset1:253
.LBB0_19:
	s_or_b64 exec, exec, s[2:3]
	v_lshlrev_b32_e32 v11, 1, v5
	v_mov_b32_e32 v12, v6
	v_lshlrev_b64 v[12:13], 2, v[11:12]
	v_lshlrev_b32_e32 v14, 1, v24
	v_mov_b32_e32 v15, v6
	v_mov_b32_e32 v18, s13
	v_add_co_u32_e64 v12, s[2:3], s12, v12
	v_lshlrev_b64 v[14:15], 2, v[14:15]
	v_addc_co_u32_e64 v13, s[2:3], v18, v13, s[2:3]
	v_add_u32_e32 v16, 0x198, v11
	v_mov_b32_e32 v17, v6
	v_add_co_u32_e64 v14, s[2:3], s12, v14
	v_lshlrev_b64 v[16:17], 2, v[16:17]
	v_addc_co_u32_e64 v15, s[2:3], v18, v15, s[2:3]
	v_add_co_u32_e64 v16, s[2:3], s12, v16
	s_waitcnt lgkmcnt(0)
	s_barrier
	global_load_dwordx2 v[12:13], v[12:13], off offset:1156
	v_addc_co_u32_e64 v17, s[2:3], v18, v17, s[2:3]
	global_load_dwordx2 v[14:15], v[14:15], off offset:1156
	v_add_u32_e32 v6, 0x200, v0
	global_load_dwordx2 v[16:17], v[16:17], off offset:1156
	ds_read2_b32 v[18:19], v0 offset1:102
	v_add_u32_e32 v11, 0x800, v0
	ds_read2_b32 v[21:22], v20 offset0:152 offset1:254
	ds_read_b32 v27, v0 offset:3264
	ds_read2_b32 v[23:24], v6 offset0:76 offset1:178
	ds_read2_b32 v[25:26], v11 offset0:100 offset1:202
	s_mov_b32 s2, 0xbaee
	s_movk_i32 s3, 0x3aee
	s_waitcnt lgkmcnt(3)
	v_lshrrev_b32_e32 v31, 16, v21
	s_waitcnt lgkmcnt(1)
	v_lshrrev_b32_e32 v34, 16, v24
	;; [unrolled: 2-line block ×3, first 2 shown]
	v_lshrrev_b32_e32 v32, 16, v22
	v_lshrrev_b32_e32 v36, 16, v26
	;; [unrolled: 1-line block ×6, first 2 shown]
	s_waitcnt vmcnt(0)
	s_barrier
	v_mul_f16_sdwa v37, v12, v34 dst_sel:DWORD dst_unused:UNUSED_PAD src0_sel:WORD_1 src1_sel:DWORD
	v_mul_f16_sdwa v39, v13, v35 dst_sel:DWORD dst_unused:UNUSED_PAD src0_sel:WORD_1 src1_sel:DWORD
	;; [unrolled: 1-line block ×8, first 2 shown]
	v_fma_f16 v24, v12, v24, v37
	v_fma_f16 v25, v13, v25, v39
	;; [unrolled: 1-line block ×3, first 2 shown]
	v_fma_f16 v14, v14, v31, -v42
	v_mul_f16_sdwa v31, v16, v32 dst_sel:DWORD dst_unused:UNUSED_PAD src0_sel:WORD_1 src1_sel:DWORD
	v_fma_f16 v12, v12, v34, -v38
	v_fma_f16 v13, v13, v35, -v40
	v_fma_f16 v26, v15, v26, v43
	v_fma_f16 v15, v15, v36, -v44
	v_mul_f16_sdwa v34, v16, v22 dst_sel:DWORD dst_unused:UNUSED_PAD src0_sel:WORD_1 src1_sel:DWORD
	v_mul_f16_sdwa v35, v30, v17 dst_sel:DWORD dst_unused:UNUSED_PAD src0_sel:DWORD src1_sel:WORD_1
	v_mul_f16_sdwa v36, v27, v17 dst_sel:DWORD dst_unused:UNUSED_PAD src0_sel:DWORD src1_sel:WORD_1
	v_fma_f16 v22, v16, v22, v31
	v_add_f16_e32 v31, v24, v25
	v_fma_f16 v16, v16, v32, -v34
	v_fma_f16 v27, v27, v17, v35
	v_fma_f16 v17, v30, v17, -v36
	v_add_f16_e32 v30, v18, v24
	v_sub_f16_e32 v32, v12, v13
	v_fma_f16 v18, v31, -0.5, v18
	v_add_f16_e32 v34, v28, v12
	v_add_f16_e32 v12, v12, v13
	v_sub_f16_e32 v24, v24, v25
	v_add_f16_e32 v35, v19, v21
	v_sub_f16_e32 v37, v14, v15
	v_add_f16_e32 v25, v30, v25
	v_fma_f16 v30, v32, s2, v18
	v_fma_f16 v18, v32, s3, v18
	v_add_f16_e32 v32, v29, v14
	v_add_f16_e32 v14, v14, v15
	;; [unrolled: 1-line block ×3, first 2 shown]
	v_fma_f16 v12, v12, -0.5, v28
	v_add_f16_e32 v28, v35, v26
	v_add_f16_e32 v32, v32, v15
	v_fma_f16 v14, v14, -0.5, v29
	v_sub_f16_e32 v15, v21, v26
	v_add_f16_e32 v26, v22, v27
	v_fma_f16 v19, v36, -0.5, v19
	v_fma_f16 v21, v15, s3, v14
	v_fma_f16 v14, v15, s2, v14
	v_add_f16_e32 v15, v23, v22
	v_fma_f16 v23, v26, -0.5, v23
	v_sub_f16_e32 v26, v16, v17
	v_fma_f16 v31, v24, s3, v12
	v_fma_f16 v12, v24, s2, v12
	v_fma_f16 v24, v37, s2, v19
	v_fma_f16 v19, v37, s3, v19
	v_fma_f16 v29, v26, s2, v23
	v_fma_f16 v23, v26, s3, v23
	v_add_f16_e32 v26, v33, v16
	v_add_f16_e32 v16, v16, v17
	;; [unrolled: 1-line block ×5, first 2 shown]
	v_fma_f16 v16, v16, -0.5, v33
	v_sub_f16_e32 v17, v22, v27
	v_pack_b32_f16 v12, v18, v12
	v_pack_b32_f16 v14, v19, v14
	v_fma_f16 v22, v17, s3, v16
	v_fma_f16 v16, v17, s2, v16
	v_pack_b32_f16 v13, v25, v13
	v_pack_b32_f16 v17, v30, v31
	;; [unrolled: 1-line block ×3, first 2 shown]
	ds_write2_b32 v11, v12, v14 offset0:100 offset1:202
	v_pack_b32_f16 v11, v15, v26
	ds_write2_b32 v0, v13, v18 offset1:102
	v_pack_b32_f16 v13, v24, v21
	ds_write2_b32 v6, v11, v17 offset0:76 offset1:178
	v_pack_b32_f16 v6, v29, v22
	ds_write2_b32 v20, v13, v6 offset0:152 offset1:254
	v_pack_b32_f16 v6, v23, v16
	ds_write_b32 v0, v6 offset:3264
	s_waitcnt lgkmcnt(0)
	s_barrier
	ds_read_b32 v6, v0
	v_lshlrev_b32_e32 v11, 2, v5
	v_sub_u32_e32 v11, 0, v11
	v_cmp_ne_u32_e64 s[2:3], 0, v5
                                        ; implicit-def: $vgpr14
                                        ; implicit-def: $vgpr13
                                        ; implicit-def: $vgpr12
	s_and_saveexec_b64 s[6:7], s[2:3]
	s_xor_b64 s[2:3], exec, s[6:7]
	s_cbranch_execz .LBB0_21
; %bb.20:
	global_load_dword v9, v[9:10], off offset:3604
	ds_read_b32 v10, v11 offset:3672
	s_waitcnt lgkmcnt(0)
	v_add_f16_sdwa v12, v10, v6 dst_sel:DWORD dst_unused:UNUSED_PAD src0_sel:WORD_1 src1_sel:WORD_1
	v_sub_f16_e32 v14, v6, v10
	v_add_f16_e32 v13, v10, v6
	v_sub_f16_sdwa v6, v6, v10 dst_sel:DWORD dst_unused:UNUSED_PAD src0_sel:WORD_1 src1_sel:WORD_1
	v_mul_f16_e32 v10, 0.5, v12
	v_mul_f16_e32 v14, 0.5, v14
	v_mul_f16_e32 v6, 0.5, v6
	s_waitcnt vmcnt(0)
	v_lshrrev_b32_e32 v12, 16, v9
	v_mul_f16_e32 v15, v12, v14
	v_fma_f16 v17, v13, 0.5, v15
	v_fma_f16 v16, v10, v12, v6
	v_fma_f16 v6, v10, v12, -v6
	v_fma_f16 v13, v13, 0.5, -v15
	v_fma_f16 v15, v9, v10, v17
	v_fma_f16 v12, -v9, v14, v16
	v_fma_f16 v13, -v9, v10, v13
	ds_write_b16 v0, v15
	v_fma_f16 v14, -v9, v14, v6
                                        ; implicit-def: $vgpr6
.LBB0_21:
	s_andn2_saveexec_b64 s[2:3], s[2:3]
	s_cbranch_execz .LBB0_23
; %bb.22:
	v_mov_b32_e32 v12, 0
	ds_read_u16 v9, v12 offset:1838
	s_waitcnt lgkmcnt(1)
	v_add_f16_sdwa v10, v6, v6 dst_sel:DWORD dst_unused:UNUSED_PAD src0_sel:WORD_1 src1_sel:DWORD
	v_sub_f16_sdwa v13, v6, v6 dst_sel:DWORD dst_unused:UNUSED_PAD src0_sel:DWORD src1_sel:WORD_1
	v_mov_b32_e32 v14, 0
	ds_write_b16 v0, v10
	s_waitcnt lgkmcnt(1)
	v_xor_b32_e32 v6, 0x8000, v9
	ds_write_b16 v12, v6 offset:1838
.LBB0_23:
	s_or_b64 exec, exec, s[2:3]
	s_add_u32 s2, s12, 0xe14
	s_addc_u32 s3, s13, 0
	v_mov_b32_e32 v9, s3
	s_waitcnt lgkmcnt(0)
	v_add_co_u32_e64 v6, s[2:3], s2, v7
	v_addc_co_u32_e64 v7, s[2:3], v9, v8, s[2:3]
	global_load_dword v8, v[6:7], off offset:408
	global_load_dword v9, v[6:7], off offset:816
	;; [unrolled: 1-line block ×3, first 2 shown]
	s_mov_b32 s2, 0x5040100
	ds_write_b16 v0, v12 offset:2
	v_perm_b32 v12, v14, v13, s2
	ds_write_b32 v11, v12 offset:3672
	ds_read_b32 v12, v0 offset:408
	ds_read_b32 v13, v11 offset:3264
	s_mov_b32 s6, 0xffff
	s_waitcnt lgkmcnt(0)
	v_pk_add_f16 v14, v12, v13 neg_lo:[0,1] neg_hi:[0,1]
	v_pk_add_f16 v12, v12, v13
	v_bfi_b32 v13, s6, v14, v12
	v_bfi_b32 v12, s6, v12, v14
	v_pk_mul_f16 v13, v13, 0.5 op_sel_hi:[1,0]
	v_pk_mul_f16 v12, v12, 0.5 op_sel_hi:[1,0]
	s_waitcnt vmcnt(2)
	v_pk_fma_f16 v14, v8, v13, v12 op_sel:[1,0,0]
	v_pk_mul_f16 v15, v8, v13 op_sel_hi:[0,1]
	v_pk_fma_f16 v16, v8, v13, v12 op_sel:[1,0,0] neg_lo:[1,0,0] neg_hi:[1,0,0]
	v_pk_fma_f16 v8, v8, v13, v12 op_sel:[1,0,0] neg_lo:[0,0,1] neg_hi:[0,0,1]
	v_pk_add_f16 v12, v14, v15 op_sel:[0,1] op_sel_hi:[1,0]
	v_pk_add_f16 v13, v14, v15 op_sel:[0,1] op_sel_hi:[1,0] neg_lo:[0,1] neg_hi:[0,1]
	v_pk_add_f16 v14, v16, v15 op_sel:[0,1] op_sel_hi:[1,0] neg_lo:[0,1] neg_hi:[0,1]
	;; [unrolled: 1-line block ×3, first 2 shown]
	v_bfi_b32 v12, s6, v12, v13
	v_bfi_b32 v8, s6, v14, v8
	ds_write_b32 v0, v12 offset:408
	ds_write_b32 v11, v8 offset:3264
	ds_read_b32 v8, v0 offset:816
	ds_read_b32 v12, v11 offset:2856
	s_waitcnt lgkmcnt(0)
	v_pk_add_f16 v13, v8, v12 neg_lo:[0,1] neg_hi:[0,1]
	v_pk_add_f16 v8, v8, v12
	v_bfi_b32 v12, s6, v13, v8
	v_bfi_b32 v8, s6, v8, v13
	v_pk_mul_f16 v12, v12, 0.5 op_sel_hi:[1,0]
	v_pk_mul_f16 v8, v8, 0.5 op_sel_hi:[1,0]
	s_waitcnt vmcnt(1)
	v_pk_fma_f16 v13, v9, v12, v8 op_sel:[1,0,0]
	v_pk_mul_f16 v14, v9, v12 op_sel_hi:[0,1]
	v_pk_fma_f16 v15, v9, v12, v8 op_sel:[1,0,0] neg_lo:[1,0,0] neg_hi:[1,0,0]
	v_pk_fma_f16 v8, v9, v12, v8 op_sel:[1,0,0] neg_lo:[0,0,1] neg_hi:[0,0,1]
	v_pk_add_f16 v9, v13, v14 op_sel:[0,1] op_sel_hi:[1,0]
	v_pk_add_f16 v12, v13, v14 op_sel:[0,1] op_sel_hi:[1,0] neg_lo:[0,1] neg_hi:[0,1]
	v_pk_add_f16 v13, v15, v14 op_sel:[0,1] op_sel_hi:[1,0] neg_lo:[0,1] neg_hi:[0,1]
	;; [unrolled: 1-line block ×3, first 2 shown]
	v_bfi_b32 v9, s6, v9, v12
	v_bfi_b32 v8, s6, v13, v8
	ds_write_b32 v0, v9 offset:816
	ds_write_b32 v11, v8 offset:2856
	ds_read_b32 v8, v0 offset:1224
	ds_read_b32 v9, v11 offset:2448
	s_waitcnt lgkmcnt(0)
	v_pk_add_f16 v12, v8, v9 neg_lo:[0,1] neg_hi:[0,1]
	v_pk_add_f16 v8, v8, v9
	v_bfi_b32 v9, s6, v12, v8
	v_bfi_b32 v8, s6, v8, v12
	v_pk_mul_f16 v9, v9, 0.5 op_sel_hi:[1,0]
	v_pk_mul_f16 v8, v8, 0.5 op_sel_hi:[1,0]
	s_waitcnt vmcnt(0)
	v_pk_fma_f16 v12, v10, v9, v8 op_sel:[1,0,0]
	v_pk_mul_f16 v13, v10, v9 op_sel_hi:[0,1]
	v_pk_fma_f16 v14, v10, v9, v8 op_sel:[1,0,0] neg_lo:[1,0,0] neg_hi:[1,0,0]
	v_pk_fma_f16 v8, v10, v9, v8 op_sel:[1,0,0] neg_lo:[0,0,1] neg_hi:[0,0,1]
	v_pk_add_f16 v9, v12, v13 op_sel:[0,1] op_sel_hi:[1,0]
	v_pk_add_f16 v10, v12, v13 op_sel:[0,1] op_sel_hi:[1,0] neg_lo:[0,1] neg_hi:[0,1]
	v_pk_add_f16 v12, v14, v13 op_sel:[0,1] op_sel_hi:[1,0] neg_lo:[0,1] neg_hi:[0,1]
	;; [unrolled: 1-line block ×3, first 2 shown]
	v_bfi_b32 v9, s6, v9, v10
	v_bfi_b32 v8, s6, v12, v8
	ds_write_b32 v0, v9 offset:1224
	ds_write_b32 v11, v8 offset:2448
	s_and_saveexec_b64 s[2:3], s[0:1]
	s_cbranch_execz .LBB0_25
; %bb.24:
	global_load_dword v6, v[6:7], off offset:1632
	ds_read_b32 v7, v0 offset:1632
	ds_read_b32 v8, v11 offset:2040
	s_waitcnt lgkmcnt(0)
	v_pk_add_f16 v9, v7, v8 neg_lo:[0,1] neg_hi:[0,1]
	v_pk_add_f16 v7, v7, v8
	v_bfi_b32 v8, s6, v9, v7
	v_bfi_b32 v7, s6, v7, v9
	v_pk_mul_f16 v8, v8, 0.5 op_sel_hi:[1,0]
	v_pk_mul_f16 v7, v7, 0.5 op_sel_hi:[1,0]
	s_waitcnt vmcnt(0)
	v_pk_fma_f16 v9, v6, v8, v7 op_sel:[1,0,0]
	v_pk_mul_f16 v10, v6, v8 op_sel_hi:[0,1]
	v_pk_fma_f16 v12, v6, v8, v7 op_sel:[1,0,0] neg_lo:[1,0,0] neg_hi:[1,0,0]
	v_pk_fma_f16 v6, v6, v8, v7 op_sel:[1,0,0] neg_lo:[0,0,1] neg_hi:[0,0,1]
	v_pk_add_f16 v7, v9, v10 op_sel:[0,1] op_sel_hi:[1,0]
	v_pk_add_f16 v8, v9, v10 op_sel:[0,1] op_sel_hi:[1,0] neg_lo:[0,1] neg_hi:[0,1]
	v_pk_add_f16 v9, v12, v10 op_sel:[0,1] op_sel_hi:[1,0] neg_lo:[0,1] neg_hi:[0,1]
	v_pk_add_f16 v6, v6, v10 op_sel:[0,1] op_sel_hi:[1,0] neg_lo:[0,1] neg_hi:[0,1]
	v_bfi_b32 v7, s6, v7, v8
	v_bfi_b32 v6, s6, v9, v6
	ds_write_b32 v0, v7 offset:1632
	ds_write_b32 v11, v6 offset:2040
.LBB0_25:
	s_or_b64 exec, exec, s[2:3]
	s_waitcnt lgkmcnt(0)
	s_barrier
	s_and_saveexec_b64 s[0:1], vcc
	s_cbranch_execz .LBB0_28
; %bb.26:
	v_mul_lo_u32 v0, s5, v3
	v_mul_lo_u32 v6, s4, v4
	v_mad_u64_u32 v[3:4], s[0:1], s4, v3, 0
	v_lshl_add_u32 v9, v5, 2, 0
	ds_read2_b32 v[7:8], v9 offset1:102
	v_add3_u32 v4, v4, v6, v0
	v_lshlrev_b64 v[3:4], 2, v[3:4]
	v_mov_b32_e32 v0, s11
	v_add_co_u32_e32 v3, vcc, s10, v3
	v_addc_co_u32_e32 v4, vcc, v0, v4, vcc
	v_lshlrev_b64 v[0:1], 2, v[1:2]
	v_mov_b32_e32 v6, 0
	v_add_co_u32_e32 v0, vcc, v3, v0
	v_lshlrev_b64 v[2:3], 2, v[5:6]
	v_addc_co_u32_e32 v1, vcc, v4, v1, vcc
	v_add_co_u32_e32 v2, vcc, v0, v2
	v_addc_co_u32_e32 v3, vcc, v1, v3, vcc
	s_waitcnt lgkmcnt(0)
	global_store_dword v[2:3], v7, off
	v_add_u32_e32 v2, 0x66, v5
	v_mov_b32_e32 v3, v6
	v_lshlrev_b64 v[2:3], 2, v[2:3]
	v_add_u32_e32 v4, 0x200, v9
	v_add_co_u32_e32 v2, vcc, v0, v2
	v_addc_co_u32_e32 v3, vcc, v1, v3, vcc
	global_store_dword v[2:3], v8, off
	v_add_u32_e32 v2, 0xcc, v5
	v_mov_b32_e32 v3, v6
	ds_read2_b32 v[7:8], v4 offset0:76 offset1:178
	v_lshlrev_b64 v[2:3], 2, v[2:3]
	v_add_u32_e32 v4, 0x400, v9
	v_add_co_u32_e32 v2, vcc, v0, v2
	v_addc_co_u32_e32 v3, vcc, v1, v3, vcc
	s_waitcnt lgkmcnt(0)
	global_store_dword v[2:3], v7, off
	v_add_u32_e32 v2, 0x132, v5
	v_mov_b32_e32 v3, v6
	v_lshlrev_b64 v[2:3], 2, v[2:3]
	s_movk_i32 s0, 0x65
	v_add_co_u32_e32 v2, vcc, v0, v2
	v_addc_co_u32_e32 v3, vcc, v1, v3, vcc
	global_store_dword v[2:3], v8, off
	v_add_u32_e32 v2, 0x198, v5
	v_mov_b32_e32 v3, v6
	ds_read2_b32 v[7:8], v4 offset0:152 offset1:254
	v_lshlrev_b64 v[2:3], 2, v[2:3]
	v_add_u32_e32 v4, 0x800, v9
	v_add_co_u32_e32 v2, vcc, v0, v2
	v_addc_co_u32_e32 v3, vcc, v1, v3, vcc
	s_waitcnt lgkmcnt(0)
	global_store_dword v[2:3], v7, off
	v_add_u32_e32 v2, 0x1fe, v5
	v_mov_b32_e32 v3, v6
	v_lshlrev_b64 v[2:3], 2, v[2:3]
	v_add_co_u32_e32 v2, vcc, v0, v2
	v_addc_co_u32_e32 v3, vcc, v1, v3, vcc
	global_store_dword v[2:3], v8, off
	v_add_u32_e32 v2, 0x264, v5
	v_mov_b32_e32 v3, v6
	ds_read2_b32 v[7:8], v4 offset0:100 offset1:202
	v_lshlrev_b64 v[2:3], 2, v[2:3]
	ds_read_b32 v4, v9 offset:3264
	v_add_co_u32_e32 v2, vcc, v0, v2
	v_addc_co_u32_e32 v3, vcc, v1, v3, vcc
	s_waitcnt lgkmcnt(1)
	global_store_dword v[2:3], v7, off
	v_add_u32_e32 v2, 0x2ca, v5
	v_mov_b32_e32 v3, v6
	v_lshlrev_b64 v[2:3], 2, v[2:3]
	v_add_co_u32_e32 v2, vcc, v0, v2
	v_addc_co_u32_e32 v3, vcc, v1, v3, vcc
	global_store_dword v[2:3], v8, off
	v_add_u32_e32 v2, 0x330, v5
	v_mov_b32_e32 v3, v6
	v_lshlrev_b64 v[2:3], 2, v[2:3]
	v_add_co_u32_e32 v2, vcc, v0, v2
	v_addc_co_u32_e32 v3, vcc, v1, v3, vcc
	v_cmp_eq_u32_e32 vcc, s0, v5
	s_waitcnt lgkmcnt(0)
	global_store_dword v[2:3], v4, off
	s_and_b64 exec, exec, vcc
	s_cbranch_execz .LBB0_28
; %bb.27:
	ds_read_b32 v2, v6 offset:3672
	s_waitcnt lgkmcnt(0)
	global_store_dword v[0:1], v2, off offset:3672
.LBB0_28:
	s_endpgm
	.section	.rodata,"a",@progbits
	.p2align	6, 0x0
	.amdhsa_kernel fft_rtc_back_len918_factors_17_9_2_3_wgs_102_tpt_102_halfLds_half_op_CI_CI_unitstride_sbrr_R2C_dirReg
		.amdhsa_group_segment_fixed_size 0
		.amdhsa_private_segment_fixed_size 0
		.amdhsa_kernarg_size 104
		.amdhsa_user_sgpr_count 6
		.amdhsa_user_sgpr_private_segment_buffer 1
		.amdhsa_user_sgpr_dispatch_ptr 0
		.amdhsa_user_sgpr_queue_ptr 0
		.amdhsa_user_sgpr_kernarg_segment_ptr 1
		.amdhsa_user_sgpr_dispatch_id 0
		.amdhsa_user_sgpr_flat_scratch_init 0
		.amdhsa_user_sgpr_private_segment_size 0
		.amdhsa_uses_dynamic_stack 0
		.amdhsa_system_sgpr_private_segment_wavefront_offset 0
		.amdhsa_system_sgpr_workgroup_id_x 1
		.amdhsa_system_sgpr_workgroup_id_y 0
		.amdhsa_system_sgpr_workgroup_id_z 0
		.amdhsa_system_sgpr_workgroup_info 0
		.amdhsa_system_vgpr_workitem_id 0
		.amdhsa_next_free_vgpr 149
		.amdhsa_next_free_sgpr 34
		.amdhsa_reserve_vcc 1
		.amdhsa_reserve_flat_scratch 0
		.amdhsa_float_round_mode_32 0
		.amdhsa_float_round_mode_16_64 0
		.amdhsa_float_denorm_mode_32 3
		.amdhsa_float_denorm_mode_16_64 3
		.amdhsa_dx10_clamp 1
		.amdhsa_ieee_mode 1
		.amdhsa_fp16_overflow 0
		.amdhsa_exception_fp_ieee_invalid_op 0
		.amdhsa_exception_fp_denorm_src 0
		.amdhsa_exception_fp_ieee_div_zero 0
		.amdhsa_exception_fp_ieee_overflow 0
		.amdhsa_exception_fp_ieee_underflow 0
		.amdhsa_exception_fp_ieee_inexact 0
		.amdhsa_exception_int_div_zero 0
	.end_amdhsa_kernel
	.text
.Lfunc_end0:
	.size	fft_rtc_back_len918_factors_17_9_2_3_wgs_102_tpt_102_halfLds_half_op_CI_CI_unitstride_sbrr_R2C_dirReg, .Lfunc_end0-fft_rtc_back_len918_factors_17_9_2_3_wgs_102_tpt_102_halfLds_half_op_CI_CI_unitstride_sbrr_R2C_dirReg
                                        ; -- End function
	.section	.AMDGPU.csdata,"",@progbits
; Kernel info:
; codeLenInByte = 10584
; NumSgprs: 38
; NumVgprs: 149
; ScratchSize: 0
; MemoryBound: 0
; FloatMode: 240
; IeeeMode: 1
; LDSByteSize: 0 bytes/workgroup (compile time only)
; SGPRBlocks: 4
; VGPRBlocks: 37
; NumSGPRsForWavesPerEU: 38
; NumVGPRsForWavesPerEU: 149
; Occupancy: 1
; WaveLimiterHint : 1
; COMPUTE_PGM_RSRC2:SCRATCH_EN: 0
; COMPUTE_PGM_RSRC2:USER_SGPR: 6
; COMPUTE_PGM_RSRC2:TRAP_HANDLER: 0
; COMPUTE_PGM_RSRC2:TGID_X_EN: 1
; COMPUTE_PGM_RSRC2:TGID_Y_EN: 0
; COMPUTE_PGM_RSRC2:TGID_Z_EN: 0
; COMPUTE_PGM_RSRC2:TIDIG_COMP_CNT: 0
	.type	__hip_cuid_f0ecbf015865e1a,@object ; @__hip_cuid_f0ecbf015865e1a
	.section	.bss,"aw",@nobits
	.globl	__hip_cuid_f0ecbf015865e1a
__hip_cuid_f0ecbf015865e1a:
	.byte	0                               ; 0x0
	.size	__hip_cuid_f0ecbf015865e1a, 1

	.ident	"AMD clang version 19.0.0git (https://github.com/RadeonOpenCompute/llvm-project roc-6.4.0 25133 c7fe45cf4b819c5991fe208aaa96edf142730f1d)"
	.section	".note.GNU-stack","",@progbits
	.addrsig
	.addrsig_sym __hip_cuid_f0ecbf015865e1a
	.amdgpu_metadata
---
amdhsa.kernels:
  - .args:
      - .actual_access:  read_only
        .address_space:  global
        .offset:         0
        .size:           8
        .value_kind:     global_buffer
      - .offset:         8
        .size:           8
        .value_kind:     by_value
      - .actual_access:  read_only
        .address_space:  global
        .offset:         16
        .size:           8
        .value_kind:     global_buffer
      - .actual_access:  read_only
        .address_space:  global
        .offset:         24
        .size:           8
        .value_kind:     global_buffer
      - .actual_access:  read_only
        .address_space:  global
        .offset:         32
        .size:           8
        .value_kind:     global_buffer
      - .offset:         40
        .size:           8
        .value_kind:     by_value
      - .actual_access:  read_only
        .address_space:  global
        .offset:         48
        .size:           8
        .value_kind:     global_buffer
      - .actual_access:  read_only
        .address_space:  global
        .offset:         56
        .size:           8
        .value_kind:     global_buffer
      - .offset:         64
        .size:           4
        .value_kind:     by_value
      - .actual_access:  read_only
        .address_space:  global
        .offset:         72
        .size:           8
        .value_kind:     global_buffer
      - .actual_access:  read_only
        .address_space:  global
        .offset:         80
        .size:           8
        .value_kind:     global_buffer
      - .actual_access:  read_only
        .address_space:  global
        .offset:         88
        .size:           8
        .value_kind:     global_buffer
      - .actual_access:  write_only
        .address_space:  global
        .offset:         96
        .size:           8
        .value_kind:     global_buffer
    .group_segment_fixed_size: 0
    .kernarg_segment_align: 8
    .kernarg_segment_size: 104
    .language:       OpenCL C
    .language_version:
      - 2
      - 0
    .max_flat_workgroup_size: 102
    .name:           fft_rtc_back_len918_factors_17_9_2_3_wgs_102_tpt_102_halfLds_half_op_CI_CI_unitstride_sbrr_R2C_dirReg
    .private_segment_fixed_size: 0
    .sgpr_count:     38
    .sgpr_spill_count: 0
    .symbol:         fft_rtc_back_len918_factors_17_9_2_3_wgs_102_tpt_102_halfLds_half_op_CI_CI_unitstride_sbrr_R2C_dirReg.kd
    .uniform_work_group_size: 1
    .uses_dynamic_stack: false
    .vgpr_count:     149
    .vgpr_spill_count: 0
    .wavefront_size: 64
amdhsa.target:   amdgcn-amd-amdhsa--gfx906
amdhsa.version:
  - 1
  - 2
...

	.end_amdgpu_metadata
